;; amdgpu-corpus repo=ROCm/rocFFT kind=compiled arch=gfx906 opt=O3
	.text
	.amdgcn_target "amdgcn-amd-amdhsa--gfx906"
	.amdhsa_code_object_version 6
	.protected	bluestein_single_back_len2040_dim1_sp_op_CI_CI ; -- Begin function bluestein_single_back_len2040_dim1_sp_op_CI_CI
	.globl	bluestein_single_back_len2040_dim1_sp_op_CI_CI
	.p2align	8
	.type	bluestein_single_back_len2040_dim1_sp_op_CI_CI,@function
bluestein_single_back_len2040_dim1_sp_op_CI_CI: ; @bluestein_single_back_len2040_dim1_sp_op_CI_CI
; %bb.0:
	s_mov_b64 s[22:23], s[2:3]
	s_mov_b64 s[20:21], s[0:1]
	s_load_dwordx4 s[0:3], s[4:5], 0x28
	v_mul_u32_u24_e32 v1, 0x182, v0
	v_add_u32_sdwa v227, s6, v1 dst_sel:DWORD dst_unused:UNUSED_PAD src0_sel:DWORD src1_sel:WORD_1
	v_mov_b32_e32 v228, 0
	s_add_u32 s20, s20, s7
	s_waitcnt lgkmcnt(0)
	v_cmp_gt_u64_e32 vcc, s[0:1], v[227:228]
	s_addc_u32 s21, s21, 0
	s_and_saveexec_b64 s[0:1], vcc
	s_cbranch_execz .LBB0_23
; %bb.1:
	s_load_dwordx2 s[12:13], s[4:5], 0x0
	s_load_dwordx2 s[14:15], s[4:5], 0x38
	s_movk_i32 s0, 0xaa
	v_mul_lo_u16_sdwa v1, v1, s0 dst_sel:DWORD dst_unused:UNUSED_PAD src0_sel:WORD_1 src1_sel:DWORD
	v_sub_u16_e32 v123, v0, v1
	s_movk_i32 s0, 0x78
	v_cmp_gt_u16_e64 s[0:1], s0, v123
	v_lshlrev_b32_e32 v124, 3, v123
	s_and_saveexec_b64 s[6:7], s[0:1]
	s_cbranch_execz .LBB0_3
; %bb.2:
	s_load_dwordx2 s[8:9], s[4:5], 0x18
	v_or_b32_e32 v72, 0x780, v123
	s_waitcnt lgkmcnt(0)
	s_load_dwordx4 s[8:11], s[8:9], 0x0
	s_waitcnt lgkmcnt(0)
	v_mad_u64_u32 v[0:1], s[16:17], s10, v227, 0
	v_mad_u64_u32 v[2:3], s[16:17], s8, v123, 0
	v_mad_u64_u32 v[4:5], s[10:11], s11, v227, v[1:2]
	v_mad_u64_u32 v[5:6], s[10:11], s9, v123, v[3:4]
	v_mov_b32_e32 v1, v4
	v_lshlrev_b64 v[0:1], 3, v[0:1]
	v_mov_b32_e32 v3, v5
	v_mov_b32_e32 v6, s3
	v_lshlrev_b64 v[2:3], 3, v[2:3]
	v_add_co_u32_e32 v70, vcc, s2, v0
	v_addc_co_u32_e32 v71, vcc, v6, v1, vcc
	v_add_co_u32_e32 v0, vcc, v70, v2
	v_addc_co_u32_e32 v1, vcc, v71, v3, vcc
	v_mov_b32_e32 v2, s13
	v_add_co_u32_e32 v56, vcc, s12, v124
	s_mul_i32 s2, s9, 0x3c0
	s_mul_hi_u32 s3, s8, 0x3c0
	v_addc_co_u32_e32 v57, vcc, 0, v2, vcc
	s_add_i32 s3, s3, s2
	s_mul_i32 s2, s8, 0x3c0
	v_mov_b32_e32 v3, s3
	v_add_co_u32_e32 v2, vcc, s2, v0
	v_addc_co_u32_e32 v3, vcc, v1, v3, vcc
	v_mov_b32_e32 v5, s3
	v_add_co_u32_e32 v4, vcc, s2, v2
	v_addc_co_u32_e32 v5, vcc, v3, v5, vcc
	;; [unrolled: 3-line block ×3, first 2 shown]
	global_load_dwordx2 v[6:7], v124, s[12:13]
	global_load_dwordx2 v[8:9], v124, s[12:13] offset:960
	global_load_dwordx2 v[10:11], v124, s[12:13] offset:1920
	global_load_dwordx2 v[14:15], v[0:1], off
	global_load_dwordx2 v[16:17], v[2:3], off
	;; [unrolled: 1-line block ×4, first 2 shown]
	v_mov_b32_e32 v1, s3
	v_add_co_u32_e32 v0, vcc, s2, v12
	v_addc_co_u32_e32 v1, vcc, v13, v1, vcc
	global_load_dwordx2 v[2:3], v[0:1], off
	global_load_dwordx2 v[4:5], v124, s[12:13] offset:2880
	global_load_dwordx2 v[12:13], v124, s[12:13] offset:3840
	v_mov_b32_e32 v22, s3
	v_add_co_u32_e32 v0, vcc, s2, v0
	v_addc_co_u32_e32 v1, vcc, v1, v22, vcc
	s_movk_i32 s10, 0x1000
	v_add_co_u32_e32 v24, vcc, s10, v56
	v_addc_co_u32_e32 v25, vcc, 0, v57, vcc
	global_load_dwordx2 v[22:23], v[0:1], off
	v_mov_b32_e32 v26, s3
	v_add_co_u32_e32 v0, vcc, s2, v0
	v_addc_co_u32_e32 v1, vcc, v1, v26, vcc
	global_load_dwordx2 v[26:27], v[0:1], off
	v_mov_b32_e32 v28, s3
	;; [unrolled: 4-line block ×3, first 2 shown]
	v_add_co_u32_e32 v0, vcc, s2, v0
	v_addc_co_u32_e32 v1, vcc, v1, v30, vcc
	global_load_dwordx2 v[30:31], v[0:1], off
	global_load_dwordx2 v[32:33], v[24:25], off offset:704
	global_load_dwordx2 v[34:35], v[24:25], off offset:1664
	;; [unrolled: 1-line block ×4, first 2 shown]
	v_mov_b32_e32 v24, s3
	v_add_co_u32_e32 v0, vcc, s2, v0
	v_addc_co_u32_e32 v1, vcc, v1, v24, vcc
	s_movk_i32 s10, 0x2000
	v_add_co_u32_e32 v40, vcc, s10, v56
	v_addc_co_u32_e32 v41, vcc, 0, v57, vcc
	global_load_dwordx2 v[24:25], v[0:1], off
	v_mov_b32_e32 v42, s3
	v_add_co_u32_e32 v0, vcc, s2, v0
	v_addc_co_u32_e32 v1, vcc, v1, v42, vcc
	global_load_dwordx2 v[42:43], v[0:1], off
	v_mov_b32_e32 v44, s3
	v_add_co_u32_e32 v0, vcc, s2, v0
	v_addc_co_u32_e32 v1, vcc, v1, v44, vcc
	global_load_dwordx2 v[44:45], v[0:1], off
	v_mov_b32_e32 v46, s3
	v_add_co_u32_e32 v0, vcc, s2, v0
	v_addc_co_u32_e32 v1, vcc, v1, v46, vcc
	global_load_dwordx2 v[46:47], v[0:1], off
	global_load_dwordx2 v[48:49], v[40:41], off offset:448
	global_load_dwordx2 v[50:51], v[40:41], off offset:1408
	;; [unrolled: 1-line block ×4, first 2 shown]
	v_mov_b32_e32 v40, s3
	v_add_co_u32_e32 v0, vcc, s2, v0
	v_addc_co_u32_e32 v1, vcc, v1, v40, vcc
	s_movk_i32 s10, 0x3000
	v_add_co_u32_e32 v56, vcc, s10, v56
	v_addc_co_u32_e32 v57, vcc, 0, v57, vcc
	v_mad_u64_u32 v[62:63], s[10:11], s8, v72, 0
	global_load_dwordx2 v[40:41], v[0:1], off
	v_mov_b32_e32 v60, s3
	v_add_co_u32_e32 v0, vcc, s2, v0
	v_addc_co_u32_e32 v1, vcc, v1, v60, vcc
	global_load_dwordx2 v[60:61], v[0:1], off
	v_mov_b32_e32 v64, s3
	v_add_co_u32_e32 v0, vcc, s2, v0
	v_addc_co_u32_e32 v1, vcc, v1, v64, vcc
	v_mad_u64_u32 v[63:64], s[2:3], s9, v72, v[63:64]
	global_load_dwordx2 v[58:59], v[56:57], off offset:192
	global_load_dwordx2 v[64:65], v[0:1], off
	global_load_dwordx2 v[66:67], v[56:57], off offset:1152
	global_load_dwordx2 v[68:69], v[56:57], off offset:2112
	v_lshlrev_b64 v[0:1], 3, v[62:63]
	v_lshlrev_b32_e32 v56, 3, v72
	v_add_co_u32_e32 v0, vcc, v70, v0
	v_addc_co_u32_e32 v1, vcc, v71, v1, vcc
	global_load_dwordx2 v[0:1], v[0:1], off
	s_waitcnt vmcnt(29)
	v_mul_f32_e32 v62, v15, v7
	global_load_dwordx2 v[56:57], v56, s[12:13]
	v_mul_f32_e32 v7, v14, v7
	v_fmac_f32_e32 v62, v14, v6
	v_fma_f32 v63, v15, v6, -v7
	s_waitcnt vmcnt(29)
	v_mul_f32_e32 v6, v17, v9
	v_mul_f32_e32 v7, v16, v9
	v_fmac_f32_e32 v6, v16, v8
	v_fma_f32 v7, v17, v8, -v7
	ds_write2_b64 v124, v[62:63], v[6:7] offset1:120
	s_waitcnt vmcnt(28)
	v_mul_f32_e32 v6, v19, v11
	v_mul_f32_e32 v7, v18, v11
	s_waitcnt vmcnt(25)
	v_mul_f32_e32 v8, v21, v5
	v_mul_f32_e32 v5, v20, v5
	v_fmac_f32_e32 v6, v18, v10
	v_fma_f32 v7, v19, v10, -v7
	v_fmac_f32_e32 v8, v20, v4
	v_fma_f32 v9, v21, v4, -v5
	v_add_u32_e32 v4, 0x400, v124
	ds_write2_b64 v4, v[6:7], v[8:9] offset0:112 offset1:232
	s_waitcnt vmcnt(24)
	v_mul_f32_e32 v4, v3, v13
	v_fmac_f32_e32 v4, v2, v12
	v_mul_f32_e32 v2, v2, v13
	v_fma_f32 v5, v3, v12, -v2
	s_waitcnt vmcnt(19)
	v_mul_f32_e32 v2, v23, v33
	v_mul_f32_e32 v3, v22, v33
	v_fmac_f32_e32 v2, v22, v32
	v_fma_f32 v3, v23, v32, -v3
	v_add_u32_e32 v6, 0xc00, v124
	ds_write2_b64 v6, v[4:5], v[2:3] offset0:96 offset1:216
	s_waitcnt vmcnt(18)
	v_mul_f32_e32 v2, v27, v35
	v_mul_f32_e32 v3, v26, v35
	s_waitcnt vmcnt(17)
	v_mul_f32_e32 v4, v29, v37
	v_mul_f32_e32 v5, v28, v37
	v_fmac_f32_e32 v2, v26, v34
	v_fma_f32 v3, v27, v34, -v3
	v_fmac_f32_e32 v4, v28, v36
	v_fma_f32 v5, v29, v36, -v5
	v_add_u32_e32 v6, 0x1400, v124
	ds_write2_b64 v6, v[2:3], v[4:5] offset0:80 offset1:200
	s_waitcnt vmcnt(16)
	v_mul_f32_e32 v2, v31, v39
	v_mul_f32_e32 v3, v30, v39
	s_waitcnt vmcnt(11)
	v_mul_f32_e32 v4, v25, v49
	v_mul_f32_e32 v5, v24, v49
	v_fmac_f32_e32 v2, v30, v38
	v_fma_f32 v3, v31, v38, -v3
	;; [unrolled: 12-line block ×3, first 2 shown]
	v_fmac_f32_e32 v4, v44, v52
	v_fma_f32 v5, v45, v52, -v5
	v_add_u32_e32 v6, 0x2400, v124
	ds_write2_b64 v6, v[2:3], v[4:5] offset0:48 offset1:168
	s_waitcnt vmcnt(8)
	v_mul_f32_e32 v2, v47, v55
	v_mul_f32_e32 v3, v46, v55
	v_fmac_f32_e32 v2, v46, v54
	v_fma_f32 v3, v47, v54, -v3
	v_add_u32_e32 v6, 0x2c00, v124
	s_waitcnt vmcnt(5)
	v_mul_f32_e32 v4, v41, v59
	v_mul_f32_e32 v5, v40, v59
	v_fmac_f32_e32 v4, v40, v58
	v_fma_f32 v5, v41, v58, -v5
	ds_write2_b64 v6, v[2:3], v[4:5] offset0:32 offset1:152
	s_waitcnt vmcnt(3)
	v_mul_f32_e32 v2, v61, v67
	v_mul_f32_e32 v3, v60, v67
	s_waitcnt vmcnt(2)
	v_mul_f32_e32 v4, v65, v69
	v_mul_f32_e32 v5, v64, v69
	v_fmac_f32_e32 v2, v60, v66
	v_fma_f32 v3, v61, v66, -v3
	v_fmac_f32_e32 v4, v64, v68
	v_fma_f32 v5, v65, v68, -v5
	v_add_u32_e32 v6, 0x3400, v124
	ds_write2_b64 v6, v[2:3], v[4:5] offset0:16 offset1:136
	s_waitcnt vmcnt(0)
	v_mul_f32_e32 v2, v1, v57
	v_fmac_f32_e32 v2, v0, v56
	v_mul_f32_e32 v0, v0, v57
	v_fma_f32 v3, v1, v56, -v0
	ds_write_b64 v124, v[2:3] offset:15360
.LBB0_3:
	s_or_b64 exec, exec, s[6:7]
	s_load_dwordx2 s[2:3], s[4:5], 0x20
	s_load_dwordx2 s[8:9], s[4:5], 0x8
	v_mov_b32_e32 v0, 0
	v_mov_b32_e32 v1, 0
	s_waitcnt lgkmcnt(0)
	s_barrier
	s_waitcnt lgkmcnt(0)
                                        ; implicit-def: $vgpr6
                                        ; implicit-def: $vgpr24
                                        ; implicit-def: $vgpr28
                                        ; implicit-def: $vgpr32
                                        ; implicit-def: $vgpr22
                                        ; implicit-def: $vgpr18
                                        ; implicit-def: $vgpr14
                                        ; implicit-def: $vgpr10
	s_and_saveexec_b64 s[4:5], s[0:1]
	s_cbranch_execz .LBB0_5
; %bb.4:
	v_add_u32_e32 v4, 0x400, v124
	ds_read2_b64 v[8:11], v4 offset0:112 offset1:232
	v_add_u32_e32 v4, 0xc00, v124
	ds_read2_b64 v[12:15], v4 offset0:96 offset1:216
	;; [unrolled: 2-line block ×4, first 2 shown]
	v_add_u32_e32 v4, 0x2400, v124
	v_add_u32_e32 v24, 0x2c00, v124
	;; [unrolled: 1-line block ×3, first 2 shown]
	ds_read2_b64 v[0:3], v124 offset1:120
	ds_read2_b64 v[4:7], v4 offset0:48 offset1:168
	ds_read2_b64 v[24:27], v24 offset0:32 offset1:152
	;; [unrolled: 1-line block ×3, first 2 shown]
	ds_read_b64 v[32:33], v124 offset:15360
.LBB0_5:
	s_or_b64 exec, exec, s[4:5]
	s_waitcnt lgkmcnt(0)
	v_sub_f32_e32 v58, v3, v33
	v_mul_f32_e32 v137, 0xbeb8f4ab, v58
	v_sub_f32_e32 v74, v9, v31
	v_add_f32_e32 v36, v32, v2
	v_sub_f32_e32 v73, v2, v32
	v_mov_b32_e32 v34, v137
	v_mul_f32_e32 v44, 0xbf2c7751, v74
	v_add_f32_e32 v37, v33, v3
	s_mov_b32 s6, 0x3f6eb680
	v_mul_f32_e32 v42, 0xbeb8f4ab, v73
	v_fmac_f32_e32 v34, 0x3f6eb680, v36
	v_add_f32_e32 v38, v30, v8
	v_sub_f32_e32 v78, v8, v30
	v_mov_b32_e32 v41, v44
	v_add_f32_e32 v34, v34, v0
	v_fma_f32 v35, v37, s6, -v42
	s_mov_b32 s7, 0x3f3d2fb0
	v_add_f32_e32 v39, v31, v9
	v_mul_f32_e32 v46, 0xbf2c7751, v78
	v_fmac_f32_e32 v41, 0x3f3d2fb0, v38
	v_sub_f32_e32 v79, v11, v29
	v_add_f32_e32 v35, v35, v1
	v_add_f32_e32 v34, v41, v34
	v_fma_f32 v41, v39, s7, -v46
	v_mul_f32_e32 v48, 0xbf65296c, v79
	v_add_f32_e32 v35, v41, v35
	v_add_f32_e32 v41, v28, v10
	v_sub_f32_e32 v82, v10, v28
	v_mov_b32_e32 v45, v48
	s_mov_b32 s10, 0x3ee437d1
	v_add_f32_e32 v43, v29, v11
	v_mul_f32_e32 v50, 0xbf65296c, v82
	v_fmac_f32_e32 v45, 0x3ee437d1, v41
	v_sub_f32_e32 v83, v13, v27
	v_add_f32_e32 v34, v45, v34
	v_fma_f32 v45, v43, s10, -v50
	v_mul_f32_e32 v52, 0xbf7ee86f, v83
	v_add_f32_e32 v35, v45, v35
	v_add_f32_e32 v45, v26, v12
	v_sub_f32_e32 v85, v12, v26
	v_mov_b32_e32 v49, v52
	s_mov_b32 s11, 0x3dbcf732
	v_add_f32_e32 v47, v27, v13
	v_mul_f32_e32 v54, 0xbf7ee86f, v85
	v_fmac_f32_e32 v49, 0x3dbcf732, v45
	v_sub_f32_e32 v86, v15, v25
	;; [unrolled: 12-line block ×5, first 2 shown]
	v_add_f32_e32 v34, v60, v34
	v_fma_f32 v60, v62, s19, -v178
	v_mul_f32_e32 v81, 0xbe3c28d5, v116
	v_add_f32_e32 v35, v60, v35
	v_add_f32_e32 v63, v22, v20
	v_mov_b32_e32 v60, v81
	v_sub_f32_e32 v118, v20, v22
	s_mov_b32 s17, 0xbf7ba420
	v_fmac_f32_e32 v60, 0xbf7ba420, v63
	v_add_f32_e32 v76, v23, v21
	v_mul_f32_e32 v84, 0xbe3c28d5, v118
	v_mul_f32_e32 v87, 0xbf2c7751, v58
	v_fma_f32 v61, v76, s17, -v84
	v_add_f32_e32 v60, v60, v34
	v_mov_b32_e32 v34, v87
	v_mul_f32_e32 v88, 0xbf7ee86f, v74
	v_add_f32_e32 v61, v61, v35
	v_fmac_f32_e32 v34, 0x3f3d2fb0, v36
	v_mov_b32_e32 v35, v88
	v_add_f32_e32 v34, v34, v0
	v_fmac_f32_e32 v35, 0x3dbcf732, v38
	v_mul_f32_e32 v93, 0xbf2c7751, v73
	v_add_f32_e32 v34, v35, v34
	v_fma_f32 v35, v37, s7, -v93
	v_mul_f32_e32 v94, 0xbf7ee86f, v78
	v_add_f32_e32 v35, v35, v1
	v_fma_f32 v64, v39, s11, -v94
	v_mul_f32_e32 v89, 0xbf4c4adb, v79
	v_add_f32_e32 v35, v64, v35
	v_mov_b32_e32 v64, v89
	v_fmac_f32_e32 v64, 0xbf1a4643, v41
	v_mul_f32_e32 v96, 0xbf4c4adb, v82
	v_add_f32_e32 v34, v64, v34
	v_fma_f32 v64, v43, s18, -v96
	v_mul_f32_e32 v90, 0xbe3c28d5, v83
	v_add_f32_e32 v35, v64, v35
	v_mov_b32_e32 v64, v90
	v_fmac_f32_e32 v64, 0xbf7ba420, v45
	;; [unrolled: 7-line block ×6, first 2 shown]
	v_mul_f32_e32 v104, 0x3eb8f4ab, v118
	v_mul_f32_e32 v107, 0xbf65296c, v58
	v_fma_f32 v65, v76, s6, -v104
	v_add_f32_e32 v66, v64, v34
	v_mov_b32_e32 v34, v107
	v_mul_f32_e32 v109, 0xbf4c4adb, v74
	v_add_f32_e32 v67, v65, v35
	v_fmac_f32_e32 v34, 0x3ee437d1, v36
	v_mov_b32_e32 v35, v109
	v_add_f32_e32 v34, v34, v0
	v_fmac_f32_e32 v35, 0xbf1a4643, v38
	v_mul_f32_e32 v111, 0x3e3c28d5, v79
	v_add_f32_e32 v34, v35, v34
	v_mov_b32_e32 v35, v111
	v_fmac_f32_e32 v35, 0xbf7ba420, v41
	v_mul_f32_e32 v112, 0x3f763a35, v83
	v_add_f32_e32 v34, v35, v34
	v_mov_b32_e32 v35, v112
	v_fmac_f32_e32 v35, 0xbe8c1d8e, v45
	v_mul_f32_e32 v113, 0x3f2c7751, v86
	v_add_f32_e32 v34, v35, v34
	v_mov_b32_e32 v35, v113
	v_fmac_f32_e32 v35, 0x3f3d2fb0, v49
	v_mul_f32_e32 v114, 0xbeb8f4ab, v98
	v_add_f32_e32 v34, v35, v34
	v_mov_b32_e32 v35, v114
	v_fmac_f32_e32 v35, 0x3f6eb680, v53
	v_mul_f32_e32 v115, 0xbf7ee86f, v106
	v_add_f32_e32 v34, v35, v34
	v_mov_b32_e32 v35, v115
	v_fmac_f32_e32 v35, 0x3dbcf732, v56
	v_mul_f32_e32 v117, 0xbf06c442, v116
	v_add_f32_e32 v34, v35, v34
	v_mov_b32_e32 v35, v117
	v_fmac_f32_e32 v35, 0xbf59a7d5, v63
	v_mul_f32_e32 v119, 0xbf65296c, v73
	v_add_f32_e32 v64, v35, v34
	v_fma_f32 v34, v37, s10, -v119
	v_mul_f32_e32 v120, 0xbf4c4adb, v78
	v_add_f32_e32 v34, v34, v1
	v_fma_f32 v35, v39, s18, -v120
	;; [unrolled: 3-line block ×8, first 2 shown]
	v_mul_f32_e32 v129, 0xbf7ee86f, v58
	v_add_f32_e32 v65, v35, v34
	v_mov_b32_e32 v34, v129
	v_mul_f32_e32 v130, 0xbe3c28d5, v74
	v_fmac_f32_e32 v34, 0x3dbcf732, v36
	v_mov_b32_e32 v35, v130
	v_add_f32_e32 v34, v34, v0
	v_fmac_f32_e32 v35, 0xbf7ba420, v38
	v_mul_f32_e32 v134, 0xbf7ee86f, v73
	v_add_f32_e32 v34, v35, v34
	v_fma_f32 v35, v37, s11, -v134
	v_mul_f32_e32 v135, 0xbe3c28d5, v78
	v_add_f32_e32 v35, v35, v1
	v_fma_f32 v68, v39, s17, -v135
	v_mul_f32_e32 v131, 0x3f763a35, v79
	v_add_f32_e32 v35, v68, v35
	v_mov_b32_e32 v68, v131
	v_fmac_f32_e32 v68, 0xbe8c1d8e, v41
	v_mul_f32_e32 v138, 0x3f763a35, v82
	v_add_f32_e32 v34, v68, v34
	v_fma_f32 v68, v43, s16, -v138
	v_mul_f32_e32 v132, 0x3eb8f4ab, v83
	v_add_f32_e32 v35, v68, v35
	v_mov_b32_e32 v68, v132
	v_fmac_f32_e32 v68, 0x3f6eb680, v45
	;; [unrolled: 7-line block ×6, first 2 shown]
	v_mul_f32_e32 v145, 0x3f2c7751, v118
	v_mul_f32_e32 v146, 0xbf763a35, v58
	v_fma_f32 v69, v76, s7, -v145
	v_add_f32_e32 v70, v68, v34
	v_mov_b32_e32 v34, v146
	v_mul_f32_e32 v147, 0x3f06c442, v74
	v_add_f32_e32 v71, v69, v35
	v_fmac_f32_e32 v34, 0xbe8c1d8e, v36
	v_mov_b32_e32 v35, v147
	v_add_f32_e32 v34, v34, v0
	v_fmac_f32_e32 v35, 0xbf59a7d5, v38
	v_mul_f32_e32 v148, 0x3f2c7751, v79
	v_add_f32_e32 v34, v35, v34
	v_mov_b32_e32 v35, v148
	v_fmac_f32_e32 v35, 0x3f3d2fb0, v41
	v_mul_f32_e32 v149, 0xbf65296c, v83
	v_add_f32_e32 v34, v35, v34
	v_mov_b32_e32 v35, v149
	;; [unrolled: 4-line block ×6, first 2 shown]
	v_fmac_f32_e32 v35, 0xbf1a4643, v63
	v_mul_f32_e32 v154, 0xbf763a35, v73
	v_add_f32_e32 v68, v35, v34
	v_fma_f32 v34, v37, s16, -v154
	v_mul_f32_e32 v155, 0x3f06c442, v78
	v_add_f32_e32 v34, v34, v1
	v_fma_f32 v35, v39, s19, -v155
	;; [unrolled: 3-line block ×8, first 2 shown]
	v_add_f32_e32 v69, v35, v34
	s_barrier
	s_and_saveexec_b64 s[4:5], s[0:1]
	s_cbranch_execz .LBB0_7
; %bb.6:
	v_mul_f32_e32 v166, 0xbf59a7d5, v37
	v_mov_b32_e32 v34, v166
	v_mul_f32_e32 v167, 0x3ee437d1, v39
	v_fmac_f32_e32 v34, 0x3f06c442, v73
	v_mov_b32_e32 v35, v167
	v_add_f32_e32 v34, v34, v1
	v_fmac_f32_e32 v35, 0xbf65296c, v78
	v_mul_f32_e32 v168, 0x3dbcf732, v43
	v_add_f32_e32 v34, v35, v34
	v_mov_b32_e32 v35, v168
	v_fmac_f32_e32 v35, 0x3f7ee86f, v82
	v_mul_f32_e32 v169, 0xbf1a4643, v47
	v_add_f32_e32 v34, v35, v34
	v_mov_b32_e32 v35, v169
	;; [unrolled: 4-line block ×6, first 2 shown]
	v_fmac_f32_e32 v35, 0x3f763a35, v118
	v_mov_b32_e32 v80, v227
	v_mul_f32_e32 v227, 0xbf06c442, v58
	v_add_f32_e32 v35, v35, v34
	v_mov_b32_e32 v34, v227
	v_mul_f32_e32 v228, 0x3f65296c, v74
	v_fmac_f32_e32 v34, 0xbf59a7d5, v36
	v_mov_b32_e32 v162, v228
	v_add_f32_e32 v34, v34, v0
	v_fmac_f32_e32 v162, 0x3ee437d1, v38
	v_mul_f32_e32 v229, 0xbf7ee86f, v79
	v_add_f32_e32 v34, v162, v34
	v_mov_b32_e32 v162, v229
	v_fmac_f32_e32 v162, 0x3dbcf732, v41
	v_mul_f32_e32 v230, 0x3f4c4adb, v83
	v_add_f32_e32 v34, v162, v34
	v_mov_b32_e32 v162, v230
	;; [unrolled: 4-line block ×7, first 2 shown]
	v_mul_f32_e32 v165, 0x3f6eb680, v39
	v_fmac_f32_e32 v162, 0x3e3c28d5, v73
	v_mov_b32_e32 v163, v165
	v_add_f32_e32 v162, v162, v1
	v_fmac_f32_e32 v163, 0xbeb8f4ab, v78
	v_mul_f32_e32 v235, 0xbf59a7d5, v43
	v_add_f32_e32 v162, v163, v162
	v_mov_b32_e32 v163, v235
	v_fmac_f32_e32 v163, 0x3f06c442, v82
	v_mul_f32_e32 v236, 0x3f3d2fb0, v47
	v_fmac_f32_e32 v166, 0xbf06c442, v73
	v_add_f32_e32 v162, v163, v162
	v_mov_b32_e32 v163, v236
	v_add_f32_e32 v166, v166, v1
	v_fmac_f32_e32 v167, 0x3f65296c, v78
	v_fmac_f32_e32 v163, 0xbf2c7751, v85
	v_mul_f32_e32 v237, 0xbf1a4643, v51
	v_add_f32_e32 v166, v167, v166
	v_fmac_f32_e32 v168, 0xbf7ee86f, v82
	v_add_f32_e32 v162, v163, v162
	v_mov_b32_e32 v163, v237
	v_add_f32_e32 v166, v168, v166
	v_fmac_f32_e32 v169, 0x3f4c4adb, v85
	v_fmac_f32_e32 v163, 0x3f4c4adb, v92
	v_mul_f32_e32 v238, 0x3ee437d1, v55
	v_add_f32_e32 v166, v169, v166
	v_fmac_f32_e32 v223, 0xbeb8f4ab, v92
	v_fma_f32 v167, v36, s19, -v227
	v_add_f32_e32 v162, v163, v162
	v_mov_b32_e32 v163, v238
	v_add_f32_e32 v166, v223, v166
	v_fmac_f32_e32 v224, 0xbe3c28d5, v105
	v_add_f32_e32 v167, v167, v0
	v_fma_f32 v168, v38, s10, -v228
	v_fmac_f32_e32 v163, 0xbf65296c, v105
	v_mul_f32_e32 v239, 0xbe8c1d8e, v62
	v_add_f32_e32 v166, v224, v166
	v_fmac_f32_e32 v225, 0x3f2c7751, v110
	v_add_f32_e32 v167, v168, v167
	v_fma_f32 v168, v41, s11, -v229
	v_add_f32_e32 v162, v163, v162
	v_mov_b32_e32 v163, v239
	v_add_f32_e32 v166, v225, v166
	v_add_f32_e32 v167, v168, v167
	v_fma_f32 v168, v45, s18, -v230
	v_fmac_f32_e32 v226, 0xbf763a35, v118
	v_fmac_f32_e32 v163, 0x3f763a35, v110
	v_mul_f32_e32 v240, 0x3dbcf732, v76
	v_add_f32_e32 v168, v168, v167
	v_add_f32_e32 v167, v226, v166
	v_mul_f32_e32 v226, 0xbf4c4adb, v73
	v_add_f32_e32 v162, v163, v162
	v_mov_b32_e32 v163, v240
	v_fmac_f32_e32 v164, 0xbe3c28d5, v73
	v_mov_b32_e32 v73, v226
	v_mul_f32_e32 v230, 0x3f763a35, v78
	v_fmac_f32_e32 v163, 0xbf7ee86f, v118
	v_mul_f32_e32 v241, 0xbe3c28d5, v58
	v_fmac_f32_e32 v165, 0x3eb8f4ab, v78
	v_fmac_f32_e32 v73, 0xbf1a4643, v37
	v_mov_b32_e32 v78, v230
	v_add_f32_e32 v163, v163, v162
	v_mov_b32_e32 v162, v241
	v_mul_f32_e32 v242, 0x3eb8f4ab, v74
	v_fma_f32 v166, v49, s6, -v231
	v_add_f32_e32 v73, v73, v1
	v_fmac_f32_e32 v78, 0xbe8c1d8e, v39
	v_mul_f32_e32 v231, 0xbeb8f4ab, v82
	v_fmac_f32_e32 v162, 0xbf7ba420, v36
	v_mov_b32_e32 v243, v242
	v_add_f32_e32 v73, v78, v73
	v_mov_b32_e32 v78, v231
	v_add_f32_e32 v162, v162, v0
	v_fmac_f32_e32 v243, 0x3f6eb680, v38
	v_add_f32_e32 v166, v166, v168
	v_fma_f32 v168, v53, s17, -v232
	v_fmac_f32_e32 v78, 0x3f6eb680, v43
	v_mul_f32_e32 v232, 0xbf06c442, v85
	v_add_f32_e32 v162, v243, v162
	v_mul_f32_e32 v243, 0xbf06c442, v79
	v_add_f32_e32 v73, v78, v73
	v_mov_b32_e32 v78, v232
	v_mov_b32_e32 v244, v243
	v_fmac_f32_e32 v237, 0xbf4c4adb, v92
	v_fmac_f32_e32 v78, 0xbf59a7d5, v47
	v_mul_f32_e32 v92, 0x3f7ee86f, v92
	v_fmac_f32_e32 v244, 0xbf59a7d5, v41
	v_add_f32_e32 v73, v78, v73
	v_mov_b32_e32 v78, v92
	v_add_f32_e32 v162, v244, v162
	v_mul_f32_e32 v244, 0x3f2c7751, v83
	v_fmac_f32_e32 v238, 0x3f65296c, v105
	v_fmac_f32_e32 v78, 0x3dbcf732, v51
	v_mul_f32_e32 v105, 0xbf2c7751, v105
	v_mov_b32_e32 v245, v244
	v_add_f32_e32 v73, v78, v73
	v_mov_b32_e32 v78, v105
	v_fmac_f32_e32 v245, 0x3f3d2fb0, v45
	v_fmac_f32_e32 v239, 0xbf763a35, v110
	;; [unrolled: 1-line block ×3, first 2 shown]
	v_mul_f32_e32 v110, 0xbe3c28d5, v110
	v_add_f32_e32 v162, v245, v162
	v_mul_f32_e32 v245, 0xbf4c4adb, v86
	v_add_f32_e32 v73, v78, v73
	v_mov_b32_e32 v78, v110
	v_mov_b32_e32 v246, v245
	v_fmac_f32_e32 v240, 0x3f7ee86f, v118
	v_fmac_f32_e32 v78, 0xbf7ba420, v62
	v_mul_f32_e32 v118, 0x3f65296c, v118
	v_fmac_f32_e32 v246, 0xbf1a4643, v49
	v_add_f32_e32 v166, v168, v166
	v_fma_f32 v168, v56, s7, -v233
	v_add_f32_e32 v73, v78, v73
	v_mov_b32_e32 v78, v118
	v_mul_f32_e32 v233, 0xbf4c4adb, v58
	v_add_f32_e32 v162, v246, v162
	v_mul_f32_e32 v246, 0x3f65296c, v98
	v_add_f32_e32 v166, v168, v166
	v_fma_f32 v168, v63, s16, -v234
	v_fmac_f32_e32 v78, 0x3ee437d1, v76
	v_fma_f32 v58, v36, s18, -v233
	v_mul_f32_e32 v234, 0x3f763a35, v74
	v_mov_b32_e32 v247, v246
	v_add_f32_e32 v169, v78, v73
	v_add_f32_e32 v58, v58, v0
	v_fma_f32 v73, v38, s16, -v234
	v_mul_f32_e32 v254, 0xbeb8f4ab, v79
	v_fmac_f32_e32 v247, 0x3ee437d1, v53
	v_add_f32_e32 v58, v73, v58
	v_fma_f32 v73, v41, s6, -v254
	v_mul_f32_e32 v255, 0xbf06c442, v83
	v_add_f32_e32 v162, v247, v162
	v_mul_f32_e32 v247, 0xbf763a35, v106
	v_add_f32_e32 v58, v73, v58
	v_fma_f32 v73, v45, s19, -v255
	v_mul_f32_e32 v40, 0x3f7ee86f, v86
	v_mov_b32_e32 v248, v247
	v_add_f32_e32 v58, v73, v58
	v_fma_f32 v73, v49, s11, -v40
	v_mul_f32_e32 v98, 0xbf2c7751, v98
	v_fmac_f32_e32 v248, 0xbe8c1d8e, v56
	v_add_f32_e32 v164, v164, v1
	v_add_f32_e32 v58, v73, v58
	v_fma_f32 v73, v53, s7, -v98
	v_mul_f32_e32 v106, 0xbe3c28d5, v106
	v_add_f32_e32 v162, v248, v162
	v_mul_f32_e32 v248, 0x3f7ee86f, v116
	v_add_f32_e32 v164, v165, v164
	v_fma_f32 v165, v36, s17, -v241
	v_add_f32_e32 v58, v73, v58
	v_fma_f32 v73, v56, s17, -v106
	v_mul_f32_e32 v116, 0x3f65296c, v116
	v_mul_f32_e32 v177, 0xbe8c1d8e, v37
	v_fmac_f32_e32 v235, 0xbf06c442, v82
	v_add_f32_e32 v165, v165, v0
	v_fma_f32 v241, v38, s6, -v242
	v_add_f32_e32 v58, v73, v58
	v_fma_f32 v73, v63, s10, -v116
	v_mul_f32_e32 v187, 0xbf59a7d5, v39
	v_add_f32_e32 v164, v235, v164
	v_fmac_f32_e32 v236, 0x3f2c7751, v85
	v_add_f32_e32 v165, v241, v165
	v_fma_f32 v242, v41, s19, -v243
	v_add_f32_e32 v166, v168, v166
	v_add_f32_e32 v168, v73, v58
	;; [unrolled: 1-line block ×3, first 2 shown]
	v_mul_f32_e32 v197, 0x3f3d2fb0, v43
	v_add_f32_e32 v164, v236, v164
	v_add_f32_e32 v165, v242, v165
	v_fma_f32 v243, v45, s7, -v244
	v_add_f32_e32 v58, v58, v1
	v_add_f32_e32 v73, v155, v187
	v_mul_f32_e32 v207, 0x3ee437d1, v47
	v_add_f32_e32 v164, v237, v164
	v_add_f32_e32 v165, v243, v165
	v_fma_f32 v244, v49, s18, -v245
	v_add_f32_e32 v58, v73, v58
	v_add_f32_e32 v73, v156, v197
	;; [unrolled: 6-line block ×4, first 2 shown]
	v_add_f32_e32 v246, v246, v165
	v_add_f32_e32 v165, v240, v164
	v_mul_f32_e32 v240, 0x3f6eb680, v62
	v_add_f32_e32 v58, v73, v58
	v_add_f32_e32 v73, v159, v236
	v_mul_f32_e32 v229, 0xbf1a4643, v76
	v_add_f32_e32 v58, v73, v58
	v_add_f32_e32 v73, v160, v240
	v_mul_f32_e32 v176, 0xbe8c1d8e, v36
	v_add_f32_e32 v58, v73, v58
	v_add_f32_e32 v73, v161, v229
	v_mul_f32_e32 v186, 0xbf59a7d5, v38
	v_add_f32_e32 v74, v73, v58
	v_sub_f32_e32 v58, v176, v146
	v_mul_f32_e32 v196, 0x3f3d2fb0, v41
	v_add_f32_e32 v58, v58, v0
	v_sub_f32_e32 v73, v186, v147
	v_mul_f32_e32 v206, 0x3ee437d1, v45
	;; [unrolled: 3-line block ×8, first 2 shown]
	v_add_f32_e32 v73, v73, v58
	v_add_f32_e32 v58, v134, v175
	v_mul_f32_e32 v195, 0xbe8c1d8e, v43
	v_add_f32_e32 v58, v58, v1
	v_add_f32_e32 v78, v135, v185
	v_mul_f32_e32 v205, 0x3f6eb680, v47
	;; [unrolled: 3-line block ×8, first 2 shown]
	v_add_f32_e32 v79, v78, v58
	v_sub_f32_e32 v58, v174, v129
	v_mul_f32_e32 v194, 0xbe8c1d8e, v41
	v_add_f32_e32 v58, v58, v0
	v_sub_f32_e32 v78, v184, v130
	v_mul_f32_e32 v204, 0x3f6eb680, v45
	;; [unrolled: 3-line block ×8, first 2 shown]
	v_add_f32_e32 v78, v78, v58
	v_add_f32_e32 v58, v119, v173
	v_mul_f32_e32 v193, 0xbf7ba420, v43
	v_add_f32_e32 v58, v58, v1
	v_add_f32_e32 v82, v120, v183
	v_mul_f32_e32 v203, 0xbe8c1d8e, v47
	v_mov_b32_e32 v249, v248
	v_add_f32_e32 v58, v82, v58
	v_add_f32_e32 v82, v121, v193
	v_mul_f32_e32 v213, 0x3f3d2fb0, v51
	v_fmac_f32_e32 v249, 0x3dbcf732, v63
	v_add_f32_e32 v58, v82, v58
	v_add_f32_e32 v82, v122, v203
	;; [unrolled: 1-line block ×3, first 2 shown]
	v_mul_f32_e32 v249, 0x3f6eb680, v55
	v_add_f32_e32 v58, v82, v58
	v_add_f32_e32 v82, v125, v213
	v_mul_f32_e32 v243, 0x3dbcf732, v62
	v_add_f32_e32 v58, v82, v58
	v_add_f32_e32 v82, v126, v249
	;; [unrolled: 3-line block ×4, first 2 shown]
	v_mul_f32_e32 v182, 0xbf1a4643, v38
	v_add_f32_e32 v83, v82, v58
	v_sub_f32_e32 v58, v172, v107
	v_mul_f32_e32 v192, 0xbf7ba420, v41
	v_add_f32_e32 v58, v58, v0
	v_sub_f32_e32 v82, v182, v109
	;; [unrolled: 3-line block ×8, first 2 shown]
	v_mul_f32_e32 v181, 0x3dbcf732, v39
	v_add_f32_e32 v82, v82, v58
	v_add_f32_e32 v58, v93, v171
	v_mul_f32_e32 v191, 0xbf1a4643, v43
	v_add_f32_e32 v58, v58, v1
	v_add_f32_e32 v85, v94, v181
	v_mul_f32_e32 v201, 0xbf7ba420, v47
	v_add_f32_e32 v58, v85, v58
	v_add_f32_e32 v85, v96, v191
	v_mul_f32_e32 v211, 0xbf59a7d5, v51
	v_add_f32_e32 v58, v85, v58
	v_add_f32_e32 v85, v99, v201
	v_mul_f32_e32 v221, 0xbe8c1d8e, v55
	v_add_f32_e32 v58, v85, v58
	v_add_f32_e32 v85, v101, v211
	v_mul_f32_e32 v241, 0x3ee437d1, v62
	v_add_f32_e32 v58, v85, v58
	v_add_f32_e32 v85, v102, v221
	v_mul_f32_e32 v253, 0x3f6eb680, v76
	v_add_f32_e32 v58, v85, v58
	v_add_f32_e32 v85, v103, v241
	v_mul_f32_e32 v108, 0x3f6eb680, v37
	v_mul_f32_e32 v170, 0x3f3d2fb0, v36
	v_add_f32_e32 v58, v85, v58
	v_add_f32_e32 v85, v104, v253
	;; [unrolled: 1-line block ×3, first 2 shown]
	v_mul_f32_e32 v179, 0x3f3d2fb0, v39
	v_mul_f32_e32 v180, 0x3dbcf732, v38
	v_add_f32_e32 v86, v85, v58
	v_sub_f32_e32 v58, v170, v87
	v_add_f32_e32 v42, v42, v108
	v_add_f32_e32 v2, v8, v2
	v_mul_f32_e32 v189, 0x3ee437d1, v43
	v_mul_f32_e32 v190, 0xbf1a4643, v41
	v_add_f32_e32 v58, v58, v0
	v_sub_f32_e32 v85, v180, v88
	v_add_f32_e32 v42, v42, v1
	v_add_f32_e32 v46, v46, v179
	v_add_f32_e32 v2, v10, v2
	v_mul_f32_e32 v199, 0x3dbcf732, v47
	v_mul_f32_e32 v200, 0xbf7ba420, v45
	v_add_f32_e32 v58, v85, v58
	v_sub_f32_e32 v85, v190, v89
	v_add_f32_e32 v42, v46, v42
	v_add_f32_e32 v46, v50, v189
	v_add_f32_e32 v3, v3, v1
	v_add_f32_e32 v2, v12, v2
	v_mul_f32_e32 v209, 0xbe8c1d8e, v51
	v_mul_f32_e32 v210, 0xbf59a7d5, v49
	v_add_f32_e32 v58, v85, v58
	v_sub_f32_e32 v85, v200, v90
	v_add_f32_e32 v42, v46, v42
	v_add_f32_e32 v46, v54, v199
	v_add_f32_e32 v3, v9, v3
	v_add_f32_e32 v2, v14, v2
	v_mul_f32_e32 v219, 0xbf1a4643, v55
	v_mul_f32_e32 v220, 0xbe8c1d8e, v53
	v_add_f32_e32 v58, v85, v58
	v_sub_f32_e32 v85, v210, v91
	v_add_f32_e32 v42, v46, v42
	v_add_f32_e32 v46, v59, v209
	v_add_f32_e32 v3, v11, v3
	v_add_f32_e32 v2, v16, v2
	v_mul_f32_e32 v238, 0xbf59a7d5, v62
	v_mul_f32_e32 v239, 0x3ee437d1, v56
	v_add_f32_e32 v58, v85, v58
	v_sub_f32_e32 v85, v220, v95
	v_add_f32_e32 v42, v46, v42
	v_add_f32_e32 v46, v75, v219
	v_add_f32_e32 v3, v13, v3
	;; [unrolled: 1-line block ×3, first 2 shown]
	v_fma_f32 v164, v63, s11, -v248
	v_mul_f32_e32 v248, 0xbf7ba420, v76
	v_mul_f32_e32 v252, 0x3f6eb680, v63
	v_add_f32_e32 v58, v85, v58
	v_sub_f32_e32 v85, v239, v97
	v_add_f32_e32 v42, v46, v42
	v_add_f32_e32 v46, v178, v238
	;; [unrolled: 1-line block ×5, first 2 shown]
	v_sub_f32_e32 v85, v252, v100
	v_add_f32_e32 v42, v46, v42
	v_add_f32_e32 v46, v84, v248
	;; [unrolled: 1-line block ×6, first 2 shown]
	v_mul_f32_e32 v42, 0x3f6eb680, v36
	v_add_f32_e32 v3, v19, v3
	v_add_f32_e32 v2, v4, v2
	v_fma_f32 v4, v37, s18, -v226
	v_sub_f32_e32 v42, v42, v137
	v_mul_f32_e32 v46, 0x3f3d2fb0, v38
	v_add_f32_e32 v3, v21, v3
	v_add_f32_e32 v1, v4, v1
	v_fma_f32 v4, v39, s16, -v230
	v_mul_f32_e32 v188, 0x3ee437d1, v41
	v_add_f32_e32 v42, v42, v0
	v_sub_f32_e32 v44, v46, v44
	v_add_f32_e32 v3, v23, v3
	v_add_f32_e32 v1, v4, v1
	v_fma_f32 v4, v43, s6, -v231
	v_fmac_f32_e32 v233, 0xbf1a4643, v36
	v_mul_f32_e32 v198, 0x3dbcf732, v45
	v_add_f32_e32 v42, v44, v42
	v_sub_f32_e32 v44, v188, v48
	v_add_f32_e32 v3, v5, v3
	v_add_f32_e32 v1, v4, v1
	v_fma_f32 v4, v47, s19, -v232
	v_add_f32_e32 v0, v233, v0
	v_fmac_f32_e32 v234, 0xbe8c1d8e, v38
	v_mul_f32_e32 v208, 0xbe8c1d8e, v49
	v_add_f32_e32 v42, v44, v42
	v_sub_f32_e32 v44, v198, v52
	v_add_f32_e32 v3, v7, v3
	v_add_f32_e32 v2, v6, v2
	v_add_f32_e32 v1, v4, v1
	v_fma_f32 v4, v51, s11, -v92
	v_add_f32_e32 v0, v234, v0
	v_fmac_f32_e32 v254, 0x3f6eb680, v41
	v_mul_f32_e32 v218, 0xbf1a4643, v53
	v_add_f32_e32 v42, v44, v42
	v_sub_f32_e32 v44, v208, v57
	v_add_f32_e32 v3, v25, v3
	;; [unrolled: 9-line block ×3, first 2 shown]
	v_add_f32_e32 v2, v26, v2
	v_add_f32_e32 v1, v4, v1
	v_fma_f32 v4, v62, s17, -v110
	v_add_f32_e32 v0, v255, v0
	v_fmac_f32_e32 v40, 0x3dbcf732, v49
	v_add_f32_e32 v164, v164, v246
	v_mul_f32_e32 v246, 0xbf7ba420, v63
	v_add_f32_e32 v42, v44, v42
	v_sub_f32_e32 v44, v237, v77
	v_add_f32_e32 v3, v29, v3
	v_add_f32_e32 v2, v28, v2
	;; [unrolled: 1-line block ×3, first 2 shown]
	v_fma_f32 v4, v76, s10, -v118
	v_add_f32_e32 v0, v40, v0
	v_fmac_f32_e32 v98, 0x3f3d2fb0, v53
	v_add_f32_e32 v42, v44, v42
	v_sub_f32_e32 v44, v246, v81
	v_add_f32_e32 v3, v31, v3
	v_add_f32_e32 v2, v30, v2
	;; [unrolled: 1-line block ×4, first 2 shown]
	v_fmac_f32_e32 v106, 0xbf7ba420, v56
	v_mul_lo_u16_e32 v4, 17, v123
	v_mov_b32_e32 v227, v80
	v_add_f32_e32 v57, v44, v42
	v_add_f32_e32 v3, v33, v3
	;; [unrolled: 1-line block ×4, first 2 shown]
	v_fmac_f32_e32 v116, 0x3ee437d1, v63
	v_lshlrev_b32_e32 v4, 3, v4
	v_add_f32_e32 v0, v116, v0
	ds_write2_b64 v4, v[2:3], v[57:58] offset1:1
	ds_write2_b64 v4, v[85:86], v[82:83] offset0:2 offset1:3
	ds_write2_b64 v4, v[78:79], v[73:74] offset0:4 offset1:5
	;; [unrolled: 1-line block ×7, first 2 shown]
	ds_write_b64 v4, v[60:61] offset:128
.LBB0_7:
	s_or_b64 exec, exec, s[4:5]
	s_load_dwordx4 s[4:7], s[2:3], 0x0
	s_movk_i32 s2, 0xaa
	v_add_co_u32_e32 v0, vcc, s2, v123
	s_movk_i32 s2, 0x154
	v_add_co_u32_e32 v40, vcc, s2, v123
	s_mov_b32 s2, 0xf0f1
	v_mul_u32_u24_sdwa v41, v0, s2 dst_sel:DWORD dst_unused:UNUSED_PAD src0_sel:WORD_0 src1_sel:DWORD
	v_lshrrev_b32_e32 v42, 20, v41
	v_mul_lo_u16_e32 v1, 17, v42
	v_sub_u16_e32 v43, v0, v1
	v_mul_lo_u16_e32 v1, 24, v43
	v_mov_b32_e32 v44, s9
	v_add_co_u32_e32 v1, vcc, s8, v1
	v_mul_u32_u24_sdwa v45, v40, s2 dst_sel:DWORD dst_unused:UNUSED_PAD src0_sel:WORD_0 src1_sel:DWORD
	v_addc_co_u32_e32 v2, vcc, 0, v44, vcc
	v_lshrrev_b32_e32 v46, 20, v45
	s_waitcnt lgkmcnt(0)
	s_barrier
	global_load_dwordx2 v[111:112], v[1:2], off offset:16
	global_load_dwordx4 v[16:19], v[1:2], off
	v_mul_lo_u16_e32 v1, 17, v46
	v_sub_u16_e32 v47, v40, v1
	v_mul_lo_u16_e32 v1, 24, v47
	v_add_co_u32_e32 v1, vcc, s8, v1
	v_addc_co_u32_e32 v2, vcc, 0, v44, vcc
	s_movk_i32 s3, 0xf1
	global_load_dwordx4 v[20:23], v[1:2], off
	global_load_dwordx2 v[113:114], v[1:2], off offset:16
	v_mul_lo_u16_sdwa v1, v123, s3 dst_sel:DWORD dst_unused:UNUSED_PAD src0_sel:BYTE_0 src1_sel:DWORD
	v_lshrrev_b16_e32 v48, 12, v1
	v_mul_lo_u16_e32 v1, 17, v48
	v_sub_u16_e32 v1, v123, v1
	v_and_b32_e32 v49, 0xff, v1
	v_mad_u64_u32 v[1:2], s[10:11], v49, 24, s[8:9]
	global_load_dwordx4 v[24:27], v[1:2], off
	global_load_dwordx2 v[115:116], v[1:2], off offset:16
	v_mov_b32_e32 v1, 3
	v_lshlrev_b32_sdwa v125, v1, v123 dst_sel:DWORD dst_unused:UNUSED_PAD src0_sel:DWORD src1_sel:WORD_0
	v_add_u32_e32 v53, 0x1400, v125
	ds_read2_b64 v[2:5], v125 offset1:170
	v_add_u32_e32 v51, 0x800, v125
	v_add_u32_e32 v1, 0x1e00, v125
	;; [unrolled: 1-line block ×4, first 2 shown]
	ds_read2_b64 v[6:9], v53 offset0:40 offset1:210
	ds_read2_b64 v[10:13], v51 offset0:84 offset1:254
	;; [unrolled: 1-line block ×5, first 2 shown]
	s_movk_i32 s3, 0x44
	s_waitcnt vmcnt(0) lgkmcnt(0)
	s_barrier
	v_add_co_u32_e32 v50, vcc, 0x1fe, v123
	v_add_u32_e32 v134, 0xc00, v125
	v_add_u32_e32 v133, 0x1800, v125
	;; [unrolled: 1-line block ×4, first 2 shown]
                                        ; implicit-def: $vgpr96
	v_mul_f32_e32 v57, v37, v112
	v_mul_f32_e32 v14, v7, v17
	;; [unrolled: 1-line block ×6, first 2 shown]
	v_fma_f32 v14, v6, v16, -v14
	v_fmac_f32_e32 v56, v31, v18
	v_fma_f32 v31, v36, v111, -v57
	v_mul_f32_e32 v59, v9, v21
	v_mul_f32_e32 v72, v32, v23
	;; [unrolled: 1-line block ×4, first 2 shown]
	v_fma_f32 v36, v8, v20, -v59
	v_fmac_f32_e32 v72, v33, v22
	v_fmac_f32_e32 v15, v7, v16
	v_fmac_f32_e32 v58, v37, v111
	v_fmac_f32_e32 v62, v9, v20
	v_fma_f32 v30, v30, v18, -v55
	v_mul_f32_e32 v6, v13, v25
	v_mul_f32_e32 v8, v29, v27
	;; [unrolled: 1-line block ×6, first 2 shown]
	v_fma_f32 v6, v12, v24, -v6
	v_fma_f32 v8, v28, v26, -v8
	;; [unrolled: 1-line block ×3, first 2 shown]
	v_fmac_f32_e32 v7, v13, v24
	v_fmac_f32_e32 v9, v29, v26
	;; [unrolled: 1-line block ×3, first 2 shown]
	v_sub_f32_e32 v13, v2, v8
	v_sub_f32_e32 v12, v6, v12
	;; [unrolled: 1-line block ×3, first 2 shown]
	v_fma_f32 v8, v2, 2.0, -v13
	v_sub_f32_e32 v29, v7, v37
	v_fma_f32 v2, v6, 2.0, -v12
	v_fma_f32 v9, v3, 2.0, -v28
	;; [unrolled: 1-line block ×3, first 2 shown]
	v_sub_f32_e32 v2, v8, v2
	v_sub_f32_e32 v35, v5, v56
	v_sub_f32_e32 v37, v15, v58
	v_mul_f32_e32 v34, v38, v114
	v_sub_f32_e32 v3, v9, v3
	v_fma_f32 v6, v8, 2.0, -v2
	v_sub_f32_e32 v8, v13, v29
	v_fma_f32 v29, v5, 2.0, -v35
	v_fma_f32 v5, v15, 2.0, -v37
	v_mul_f32_e32 v73, v39, v114
	v_fmac_f32_e32 v34, v39, v113
	v_fma_f32 v7, v9, 2.0, -v3
	v_add_f32_e32 v9, v28, v12
	v_sub_f32_e32 v30, v4, v30
	v_sub_f32_e32 v31, v14, v31
	;; [unrolled: 1-line block ×3, first 2 shown]
	v_fma_f32 v33, v38, v113, -v73
	v_fma_f32 v12, v13, 2.0, -v8
	v_fma_f32 v13, v28, 2.0, -v9
	v_fma_f32 v28, v4, 2.0, -v30
	v_fma_f32 v4, v14, 2.0, -v31
	v_fma_f32 v15, v29, 2.0, -v5
	v_add_f32_e32 v29, v35, v31
	v_sub_f32_e32 v38, v11, v72
	v_sub_f32_e32 v34, v62, v34
	v_fma_f32 v32, v32, v22, -v63
	v_sub_f32_e32 v4, v28, v4
	v_fma_f32 v31, v35, 2.0, -v29
	v_fma_f32 v35, v11, 2.0, -v38
	;; [unrolled: 1-line block ×4, first 2 shown]
	v_sub_f32_e32 v28, v30, v37
	v_sub_f32_e32 v37, v10, v32
	;; [unrolled: 1-line block ×4, first 2 shown]
	v_fma_f32 v33, v35, 2.0, -v11
	v_sub_f32_e32 v34, v37, v34
	v_add_f32_e32 v35, v38, v39
	v_fma_f32 v32, v10, 2.0, -v37
	v_fma_f32 v10, v36, 2.0, -v39
	;; [unrolled: 1-line block ×4, first 2 shown]
	v_mul_u32_u24_e32 v38, 0x44, v48
	v_add_lshl_u32 v128, v38, v49, 3
	ds_write2_b64 v128, v[6:7], v[12:13] offset1:17
	ds_write2_b64 v128, v[2:3], v[8:9] offset0:34 offset1:51
	v_mad_legacy_u16 v2, v42, s3, v43
	v_lshlrev_b32_e32 v129, 3, v2
	v_mad_legacy_u16 v2, v46, s3, v47
	s_movk_i32 s3, 0x79
	v_lshlrev_b32_e32 v130, 3, v2
	v_mul_lo_u16_sdwa v2, v123, s3 dst_sel:DWORD dst_unused:UNUSED_PAD src0_sel:BYTE_0 src1_sel:DWORD
	v_lshrrev_b16_e32 v55, 13, v2
	v_mul_lo_u16_e32 v2, 0x44, v55
	v_sub_u16_e32 v2, v123, v2
	v_sub_f32_e32 v10, v32, v10
	v_and_b32_e32 v56, 0xff, v2
	v_fma_f32 v30, v30, 2.0, -v28
	v_fma_f32 v32, v32, 2.0, -v10
	v_lshlrev_b32_e32 v2, 4, v56
	v_lshrrev_b32_e32 v57, 22, v41
	ds_write2_b64 v129, v[14:15], v[30:31] offset1:17
	ds_write2_b64 v129, v[4:5], v[28:29] offset0:34 offset1:51
	ds_write2_b64 v130, v[32:33], v[36:37] offset1:17
	ds_write2_b64 v130, v[10:11], v[34:35] offset0:34 offset1:51
	s_waitcnt lgkmcnt(0)
	s_barrier
	global_load_dwordx4 v[28:31], v2, s[8:9] offset:408
	v_mul_lo_u16_e32 v2, 0x44, v57
	v_sub_u16_e32 v58, v0, v2
	v_lshlrev_b16_e32 v2, 4, v58
	v_add_co_u32_e32 v2, vcc, s8, v2
	v_addc_co_u32_e32 v3, vcc, 0, v44, vcc
	v_lshrrev_b32_e32 v59, 22, v45
	global_load_dwordx4 v[32:35], v[2:3], off offset:408
	v_mul_lo_u16_e32 v2, 0x44, v59
	v_sub_u16_e32 v62, v40, v2
	v_lshlrev_b16_e32 v2, 4, v62
	v_add_co_u32_e32 v2, vcc, s8, v2
	v_addc_co_u32_e32 v3, vcc, 0, v44, vcc
	global_load_dwordx4 v[36:39], v[2:3], off offset:408
	v_mul_u32_u24_sdwa v2, v50, s2 dst_sel:DWORD dst_unused:UNUSED_PAD src0_sel:WORD_0 src1_sel:DWORD
	v_lshrrev_b32_e32 v63, 22, v2
	v_mul_lo_u16_e32 v2, 0x44, v63
	v_sub_u16_e32 v72, v50, v2
	v_lshlrev_b16_e32 v2, 4, v72
	v_add_co_u32_e32 v2, vcc, s8, v2
	v_addc_co_u32_e32 v3, vcc, 0, v44, vcc
	global_load_dwordx4 v[40:43], v[2:3], off offset:408
	ds_read2_b64 v[2:5], v125 offset1:170
	ds_read2_b64 v[6:9], v53 offset0:40 offset1:210
	ds_read2_b64 v[10:13], v52 offset0:80 offset1:250
	;; [unrolled: 1-line block ×5, first 2 shown]
	s_movk_i32 s2, 0xcc
	s_waitcnt vmcnt(0) lgkmcnt(0)
	s_barrier
	v_cmp_gt_u16_e32 vcc, 34, v123
	v_mul_f32_e32 v14, v7, v29
	v_fma_f32 v14, v6, v28, -v14
	v_mul_f32_e32 v15, v6, v29
	v_mul_f32_e32 v6, v11, v31
	v_fma_f32 v52, v10, v30, -v6
	v_fmac_f32_e32 v15, v7, v28
	v_mul_f32_e32 v10, v10, v31
	v_add_f32_e32 v7, v14, v52
	v_fmac_f32_e32 v10, v11, v30
	v_mul_f32_e32 v6, v9, v33
	v_fma_f32 v53, v8, v32, -v6
	v_mul_f32_e32 v6, v13, v35
	v_fma_f32 v73, v12, v34, -v6
	v_mul_f32_e32 v54, v8, v33
	v_fmac_f32_e32 v54, v9, v32
	v_add_f32_e32 v9, v15, v10
	v_mul_f32_e32 v74, v12, v35
	v_mul_f32_e32 v6, v45, v37
	v_fma_f32 v75, v44, v36, -v6
	v_mul_f32_e32 v6, v49, v39
	v_fma_f32 v77, v48, v38, -v6
	v_mul_f32_e32 v76, v44, v37
	v_fmac_f32_e32 v76, v45, v36
	v_mul_f32_e32 v45, v48, v39
	v_fmac_f32_e32 v45, v49, v38
	v_add_f32_e32 v11, v53, v73
	v_fmac_f32_e32 v74, v13, v34
	v_mul_f32_e32 v6, v47, v41
	v_fma_f32 v78, v46, v40, -v6
	v_mul_f32_e32 v6, v51, v43
	v_fma_f32 v80, v50, v42, -v6
	v_add_f32_e32 v6, v2, v14
	v_fma_f32 v2, -0.5, v7, v2
	v_sub_f32_e32 v7, v15, v10
	v_mov_b32_e32 v8, v2
	v_fmac_f32_e32 v8, 0x3f5db3d7, v7
	v_fmac_f32_e32 v2, 0xbf5db3d7, v7
	v_add_f32_e32 v7, v3, v15
	v_add_f32_e32 v15, v75, v77
	v_fma_f32 v44, -0.5, v15, v88
	v_mul_f32_e32 v79, v46, v41
	v_fma_f32 v3, -0.5, v9, v3
	v_sub_f32_e32 v15, v76, v45
	v_mov_b32_e32 v46, v44
	v_add_f32_e32 v7, v7, v10
	v_sub_f32_e32 v10, v14, v52
	v_mov_b32_e32 v9, v3
	v_fmac_f32_e32 v46, 0x3f5db3d7, v15
	v_fmac_f32_e32 v44, 0xbf5db3d7, v15
	v_add_f32_e32 v15, v89, v76
	v_fmac_f32_e32 v9, 0xbf5db3d7, v10
	v_fmac_f32_e32 v3, 0x3f5db3d7, v10
	v_add_f32_e32 v10, v4, v53
	v_fma_f32 v4, -0.5, v11, v4
	v_add_f32_e32 v15, v15, v45
	v_add_f32_e32 v45, v76, v45
	v_sub_f32_e32 v11, v54, v74
	v_mov_b32_e32 v12, v4
	v_add_f32_e32 v13, v54, v74
	v_fma_f32 v45, -0.5, v45, v89
	v_fmac_f32_e32 v79, v47, v40
	v_mul_f32_e32 v50, v50, v43
	v_fmac_f32_e32 v12, 0x3f5db3d7, v11
	v_fmac_f32_e32 v4, 0xbf5db3d7, v11
	v_add_f32_e32 v11, v5, v54
	v_fmac_f32_e32 v5, -0.5, v13
	v_sub_f32_e32 v48, v75, v77
	v_mov_b32_e32 v47, v45
	v_add_f32_e32 v49, v78, v80
	v_fmac_f32_e32 v50, v51, v42
	v_sub_f32_e32 v14, v53, v73
	v_mov_b32_e32 v13, v5
	v_fmac_f32_e32 v47, 0xbf5db3d7, v48
	v_fmac_f32_e32 v45, 0x3f5db3d7, v48
	v_add_f32_e32 v48, v90, v78
	v_fma_f32 v90, -0.5, v49, v90
	v_fmac_f32_e32 v13, 0xbf5db3d7, v14
	v_fmac_f32_e32 v5, 0x3f5db3d7, v14
	v_add_f32_e32 v14, v88, v75
	v_sub_f32_e32 v49, v79, v50
	v_mov_b32_e32 v88, v90
	v_fmac_f32_e32 v88, 0x3f5db3d7, v49
	v_fmac_f32_e32 v90, 0xbf5db3d7, v49
	v_add_f32_e32 v49, v91, v79
	v_add_f32_e32 v49, v49, v50
	;; [unrolled: 1-line block ×3, first 2 shown]
	v_fmac_f32_e32 v91, -0.5, v50
	v_sub_f32_e32 v50, v78, v80
	v_mov_b32_e32 v89, v91
	v_fmac_f32_e32 v89, 0xbf5db3d7, v50
	v_fmac_f32_e32 v91, 0x3f5db3d7, v50
	v_mul_u32_u24_e32 v50, 0xcc, v55
	v_add_f32_e32 v6, v6, v52
	v_add_lshl_u32 v131, v50, v56, 3
	ds_write2_b64 v131, v[6:7], v[8:9] offset1:68
	ds_write_b64 v131, v[2:3] offset:1088
	v_mad_legacy_u16 v2, v57, s2, v58
	v_lshlrev_b32_e32 v132, 3, v2
	v_mad_legacy_u16 v2, v59, s2, v62
	v_lshlrev_b32_e32 v221, 3, v2
	v_mad_legacy_u16 v2, v63, s2, v72
	v_add_f32_e32 v10, v10, v73
	v_add_f32_e32 v11, v11, v74
	;; [unrolled: 1-line block ×4, first 2 shown]
	v_lshlrev_b32_e32 v228, 3, v2
	ds_write2_b64 v132, v[10:11], v[12:13] offset1:68
	ds_write_b64 v132, v[4:5] offset:1088
	ds_write2_b64 v221, v[14:15], v[46:47] offset1:68
	ds_write_b64 v221, v[44:45] offset:1088
	;; [unrolled: 2-line block ×3, first 2 shown]
	s_waitcnt lgkmcnt(0)
	s_barrier
	ds_read2_b64 v[72:75], v125 offset1:204
	ds_read2_b64 v[76:79], v134 offset0:24 offset1:228
	ds_read2_b64 v[80:83], v133 offset0:48 offset1:252
	;; [unrolled: 1-line block ×4, first 2 shown]
	s_and_saveexec_b64 s[2:3], vcc
	s_cbranch_execz .LBB0_9
; %bb.8:
	v_add_u32_e32 v2, 0x400, v125
	ds_read2_b64 v[88:91], v2 offset0:42 offset1:246
	v_add_u32_e32 v2, 0x1200, v125
	ds_read2_b64 v[68:71], v2 offset0:2 offset1:206
	ds_read2_b64 v[64:67], v1 offset0:26 offset1:230
	v_add_u32_e32 v1, 0x2a00, v125
	ds_read2_b64 v[60:63], v1 offset0:50 offset1:254
	v_add_u32_e32 v1, 0x3800, v125
	ds_read2_b64 v[96:99], v1 offset0:10 offset1:214
.LBB0_9:
	s_or_b64 exec, exec, s[2:3]
	v_subrev_u32_e32 v1, 34, v123
	v_cndmask_b32_e32 v0, v1, v0, vcc
	v_mul_hi_i32_i24_e32 v1, 0x48, v0
	v_mul_i32_i24_e32 v0, 0x48, v0
	v_mov_b32_e32 v2, s9
	v_add_co_u32_e64 v100, s[2:3], s8, v0
	v_addc_co_u32_e64 v101, s[2:3], v2, v1, s[2:3]
	v_mov_b32_e32 v0, s8
	s_movk_i32 s2, 0x48
	v_mov_b32_e32 v1, s9
	v_mad_u64_u32 v[102:103], s[2:3], v123, s2, v[0:1]
	global_load_dwordx4 v[12:15], v[100:101], off offset:1512
	global_load_dwordx4 v[4:7], v[100:101], off offset:1528
	;; [unrolled: 1-line block ×7, first 2 shown]
	global_load_dwordx2 v[117:118], v[102:103], off offset:1560
	global_load_dwordx4 v[0:3], v[100:101], off offset:1496
                                        ; kill: killed $vgpr102_vgpr103
	global_load_dwordx2 v[109:110], v[100:101], off offset:1560
	s_mov_b32 s8, 0x3f737871
	s_mov_b32 s9, 0x3f167918
	;; [unrolled: 1-line block ×4, first 2 shown]
	s_waitcnt vmcnt(7) lgkmcnt(1)
	v_mul_f32_e32 v119, v62, v9
	s_waitcnt vmcnt(6)
	v_mul_f32_e32 v126, v74, v57
	v_mul_f32_e32 v127, v77, v59
	;; [unrolled: 1-line block ×3, first 2 shown]
	s_waitcnt vmcnt(3) lgkmcnt(0)
	v_mul_f32_e32 v146, v93, v47
	v_mul_f32_e32 v120, v75, v57
	s_waitcnt vmcnt(1)
	v_mul_f32_e32 v151, v90, v1
	v_mul_f32_e32 v152, v69, v3
	v_mul_f32_e32 v150, v91, v1
	v_mul_f32_e32 v153, v68, v3
	v_fmac_f32_e32 v151, v91, v0
	v_fma_f32 v91, v68, v2, -v152
	v_mul_f32_e32 v68, v97, v11
	v_mul_f32_e32 v105, v66, v5
	;; [unrolled: 1-line block ×5, first 2 shown]
	v_fmac_f32_e32 v119, v63, v8
	v_fmac_f32_e32 v126, v75, v56
	v_fma_f32 v63, v76, v58, -v127
	v_fma_f32 v75, v92, v46, -v146
	;; [unrolled: 1-line block ×3, first 2 shown]
	s_waitcnt vmcnt(0)
	v_mul_f32_e32 v68, v99, v110
	v_mul_f32_e32 v101, v70, v13
	;; [unrolled: 1-line block ×6, first 2 shown]
	v_fmac_f32_e32 v105, v67, v4
	v_fma_f32 v67, v80, v54, -v138
	v_fma_f32 v76, v94, v117, -v148
	;; [unrolled: 1-line block ×3, first 2 shown]
	v_add_f32_e32 v68, v72, v63
	v_mul_f32_e32 v100, v71, v13
	v_fmac_f32_e32 v101, v71, v12
	v_fma_f32 v71, v84, v50, -v142
	v_add_f32_e32 v68, v68, v67
	v_mul_f32_e32 v103, v64, v15
	v_mul_f32_e32 v136, v79, v53
	v_add_f32_e32 v68, v68, v71
	v_mul_f32_e32 v102, v65, v15
	v_mul_f32_e32 v137, v78, v53
	v_fmac_f32_e32 v103, v65, v14
	v_fma_f32 v65, v66, v4, -v104
	v_fma_f32 v66, v78, v52, -v136
	v_add_f32_e32 v78, v68, v75
	v_add_f32_e32 v68, v67, v71
	v_mul_f32_e32 v139, v80, v55
	v_mul_f32_e32 v143, v84, v51
	v_fmac_f32_e32 v135, v77, v58
	v_fmac_f32_e32 v137, v79, v52
	;; [unrolled: 1-line block ×3, first 2 shown]
	v_fma_f32 v79, -0.5, v68, v72
	v_fmac_f32_e32 v139, v81, v54
	v_fmac_f32_e32 v143, v85, v50
	v_sub_f32_e32 v68, v135, v147
	v_mov_b32_e32 v80, v79
	v_fmac_f32_e32 v153, v69, v2
	v_fmac_f32_e32 v80, 0x3f737871, v68
	v_sub_f32_e32 v69, v139, v143
	v_sub_f32_e32 v77, v63, v67
	;; [unrolled: 1-line block ×3, first 2 shown]
	v_fmac_f32_e32 v79, 0xbf737871, v68
	v_fmac_f32_e32 v80, 0x3f167918, v69
	v_add_f32_e32 v77, v77, v81
	v_fmac_f32_e32 v79, 0xbf167918, v69
	v_fmac_f32_e32 v80, 0x3e9e377a, v77
	;; [unrolled: 1-line block ×3, first 2 shown]
	v_add_f32_e32 v77, v63, v75
	v_mul_f32_e32 v140, v83, v49
	v_fma_f32 v81, -0.5, v77, v72
	v_mul_f32_e32 v141, v82, v49
	v_fma_f32 v100, v70, v12, -v100
	v_fma_f32 v70, v82, v48, -v140
	v_mov_b32_e32 v82, v81
	v_fmac_f32_e32 v82, 0xbf737871, v69
	v_fmac_f32_e32 v81, 0x3f737871, v69
	v_fmac_f32_e32 v82, 0x3f167918, v68
	v_fmac_f32_e32 v81, 0xbf167918, v68
	v_add_f32_e32 v68, v73, v135
	v_add_f32_e32 v68, v68, v139
	;; [unrolled: 1-line block ×3, first 2 shown]
	v_mul_f32_e32 v145, v86, v45
	v_fmac_f32_e32 v141, v83, v48
	v_add_f32_e32 v83, v68, v147
	v_add_f32_e32 v68, v139, v143
	v_mul_f32_e32 v144, v87, v45
	v_fmac_f32_e32 v145, v87, v44
	v_fma_f32 v87, -0.5, v68, v73
	v_sub_f32_e32 v72, v67, v63
	v_sub_f32_e32 v63, v63, v75
	v_mov_b32_e32 v85, v87
	v_fmac_f32_e32 v85, 0xbf737871, v63
	v_sub_f32_e32 v67, v67, v71
	v_sub_f32_e32 v68, v135, v139
	;; [unrolled: 1-line block ×3, first 2 shown]
	v_fmac_f32_e32 v87, 0x3f737871, v63
	v_fmac_f32_e32 v85, 0xbf167918, v67
	v_add_f32_e32 v68, v68, v69
	v_fmac_f32_e32 v87, 0x3f167918, v67
	v_fmac_f32_e32 v85, 0x3e9e377a, v68
	;; [unrolled: 1-line block ×3, first 2 shown]
	v_add_f32_e32 v68, v135, v147
	v_mul_f32_e32 v107, v60, v7
	v_mul_f32_e32 v93, v96, v11
	v_fma_f32 v96, -0.5, v68, v73
	v_mul_f32_e32 v106, v61, v7
	v_fmac_f32_e32 v107, v61, v6
	v_fma_f32 v61, v62, v8, -v108
	v_fma_f32 v62, v74, v56, -v120
	;; [unrolled: 1-line block ×3, first 2 shown]
	v_fmac_f32_e32 v93, v97, v10
	v_mov_b32_e32 v97, v96
	v_fmac_f32_e32 v97, 0x3f737871, v67
	v_sub_f32_e32 v68, v139, v135
	v_sub_f32_e32 v69, v143, v147
	v_fmac_f32_e32 v96, 0xbf737871, v67
	v_add_f32_e32 v67, v70, v74
	v_fmac_f32_e32 v149, v95, v117
	v_sub_f32_e32 v77, v71, v75
	v_fmac_f32_e32 v97, 0xbf167918, v63
	v_add_f32_e32 v68, v68, v69
	v_fmac_f32_e32 v96, 0x3f167918, v63
	v_fma_f32 v67, -0.5, v67, v62
	v_add_f32_e32 v72, v72, v77
	v_fmac_f32_e32 v97, 0x3e9e377a, v68
	v_fmac_f32_e32 v96, 0x3e9e377a, v68
	v_sub_f32_e32 v68, v137, v149
	v_mov_b32_e32 v71, v67
	v_fmac_f32_e32 v82, 0x3e9e377a, v72
	v_fmac_f32_e32 v81, 0x3e9e377a, v72
	;; [unrolled: 1-line block ×3, first 2 shown]
	v_sub_f32_e32 v69, v141, v145
	v_sub_f32_e32 v72, v66, v70
	;; [unrolled: 1-line block ×3, first 2 shown]
	v_fmac_f32_e32 v67, 0xbf737871, v68
	v_fmac_f32_e32 v71, 0x3f167918, v69
	v_add_f32_e32 v72, v72, v73
	v_fmac_f32_e32 v67, 0xbf167918, v69
	v_fmac_f32_e32 v71, 0x3e9e377a, v72
	;; [unrolled: 1-line block ×3, first 2 shown]
	v_add_f32_e32 v72, v66, v76
	v_add_f32_e32 v63, v62, v66
	v_fmac_f32_e32 v62, -0.5, v72
	v_mov_b32_e32 v73, v62
	v_fmac_f32_e32 v73, 0xbf737871, v69
	v_fmac_f32_e32 v62, 0x3f737871, v69
	;; [unrolled: 1-line block ×4, first 2 shown]
	v_add_f32_e32 v68, v126, v137
	v_add_f32_e32 v68, v68, v141
	;; [unrolled: 1-line block ×3, first 2 shown]
	v_mul_f32_e32 v95, v98, v110
	v_add_f32_e32 v98, v68, v149
	v_add_f32_e32 v68, v141, v145
	v_sub_f32_e32 v72, v70, v66
	v_sub_f32_e32 v75, v74, v76
	v_fma_f32 v77, -0.5, v68, v126
	v_add_f32_e32 v72, v72, v75
	v_sub_f32_e32 v66, v66, v76
	v_mov_b32_e32 v75, v77
	v_add_f32_e32 v63, v63, v70
	v_fmac_f32_e32 v75, 0xbf737871, v66
	v_sub_f32_e32 v68, v70, v74
	v_sub_f32_e32 v69, v137, v141
	;; [unrolled: 1-line block ×3, first 2 shown]
	v_fmac_f32_e32 v77, 0x3f737871, v66
	v_fmac_f32_e32 v75, 0xbf167918, v68
	v_add_f32_e32 v69, v69, v70
	v_fmac_f32_e32 v77, 0x3f167918, v68
	v_fmac_f32_e32 v75, 0x3e9e377a, v69
	v_fmac_f32_e32 v77, 0x3e9e377a, v69
	v_add_f32_e32 v69, v137, v149
	v_fmac_f32_e32 v126, -0.5, v69
	v_mov_b32_e32 v84, v126
	v_fmac_f32_e32 v84, 0x3f737871, v68
	v_sub_f32_e32 v69, v141, v137
	v_sub_f32_e32 v70, v145, v149
	v_fmac_f32_e32 v126, 0xbf737871, v68
	v_fmac_f32_e32 v62, 0x3e9e377a, v72
	;; [unrolled: 1-line block ×3, first 2 shown]
	v_add_f32_e32 v69, v69, v70
	v_fmac_f32_e32 v126, 0x3f167918, v66
	v_add_f32_e32 v63, v63, v74
	v_fmac_f32_e32 v84, 0x3e9e377a, v69
	v_fmac_f32_e32 v126, 0x3e9e377a, v69
	v_mul_f32_e32 v69, 0x3e9e377a, v62
	v_fma_f32 v64, v64, v14, -v102
	v_fma_f32 v60, v60, v6, -v106
	v_fmac_f32_e32 v95, v99, v109
	v_add_f32_e32 v63, v63, v76
	v_fma_f32 v99, v126, s8, -v69
	v_mul_f32_e32 v69, 0x3f4f1bbd, v67
	v_fmac_f32_e32 v73, 0x3e9e377a, v72
	v_add_f32_e32 v68, v78, v63
	v_mul_f32_e32 v66, 0x3f167918, v75
	v_fma_f32 v102, v77, s9, -v69
	v_mul_f32_e32 v104, 0xbf167918, v71
	v_mul_f32_e32 v77, 0x3f4f1bbd, v77
	v_sub_f32_e32 v78, v78, v63
	v_add_f32_e32 v63, v64, v60
	v_fmac_f32_e32 v66, 0x3f4f1bbd, v71
	v_mul_f32_e32 v86, 0x3f737871, v84
	v_fmac_f32_e32 v104, 0x3f4f1bbd, v75
	v_mul_f32_e32 v106, 0xbf737871, v73
	v_mul_f32_e32 v75, 0x3e9e377a, v126
	v_fma_f32 v67, v67, s3, -v77
	v_fma_f32 v63, -0.5, v63, v88
	v_add_f32_e32 v70, v80, v66
	v_fmac_f32_e32 v86, 0x3e9e377a, v73
	v_fmac_f32_e32 v106, 0x3e9e377a, v84
	v_fma_f32 v62, v62, s2, -v75
	v_add_f32_e32 v77, v87, v67
	v_sub_f32_e32 v80, v80, v66
	v_sub_f32_e32 v87, v87, v67
	;; [unrolled: 1-line block ×3, first 2 shown]
	v_mov_b32_e32 v67, v63
	v_add_f32_e32 v72, v82, v86
	v_add_f32_e32 v74, v81, v99
	;; [unrolled: 1-line block ×7, first 2 shown]
	v_sub_f32_e32 v82, v82, v86
	v_sub_f32_e32 v84, v81, v99
	;; [unrolled: 1-line block ×7, first 2 shown]
	v_fmac_f32_e32 v67, 0x3f737871, v66
	v_sub_f32_e32 v96, v103, v107
	v_sub_f32_e32 v97, v91, v64
	;; [unrolled: 1-line block ×3, first 2 shown]
	v_fmac_f32_e32 v63, 0xbf737871, v66
	v_fmac_f32_e32 v67, 0x3f167918, v96
	v_add_f32_e32 v97, v97, v98
	v_fmac_f32_e32 v63, 0xbf167918, v96
	v_fmac_f32_e32 v67, 0x3e9e377a, v97
	;; [unrolled: 1-line block ×3, first 2 shown]
	v_add_f32_e32 v97, v91, v92
	v_add_f32_e32 v62, v88, v91
	v_fmac_f32_e32 v88, -0.5, v97
	v_mov_b32_e32 v108, v88
	v_fmac_f32_e32 v108, 0xbf737871, v96
	v_fmac_f32_e32 v88, 0x3f737871, v96
	;; [unrolled: 1-line block ×4, first 2 shown]
	v_add_f32_e32 v66, v89, v153
	v_add_f32_e32 v66, v66, v103
	;; [unrolled: 1-line block ×6, first 2 shown]
	v_fma_f32 v126, -0.5, v66, v89
	v_add_f32_e32 v62, v62, v60
	v_sub_f32_e32 v97, v64, v91
	v_sub_f32_e32 v66, v91, v92
	v_mov_b32_e32 v91, v126
	v_add_f32_e32 v62, v62, v92
	v_sub_f32_e32 v98, v60, v92
	v_fmac_f32_e32 v91, 0xbf737871, v66
	v_sub_f32_e32 v60, v64, v60
	v_sub_f32_e32 v64, v153, v103
	;; [unrolled: 1-line block ×3, first 2 shown]
	v_fmac_f32_e32 v126, 0x3f737871, v66
	v_fmac_f32_e32 v91, 0xbf167918, v60
	v_add_f32_e32 v64, v64, v92
	v_fmac_f32_e32 v126, 0x3f167918, v60
	v_fmac_f32_e32 v91, 0x3e9e377a, v64
	;; [unrolled: 1-line block ×3, first 2 shown]
	v_add_f32_e32 v64, v153, v93
	v_fmac_f32_e32 v89, -0.5, v64
	v_mov_b32_e32 v92, v89
	v_fmac_f32_e32 v92, 0x3f737871, v60
	v_sub_f32_e32 v64, v103, v153
	v_sub_f32_e32 v93, v107, v93
	v_fmac_f32_e32 v89, 0xbf737871, v60
	v_fmac_f32_e32 v92, 0xbf167918, v66
	v_add_f32_e32 v64, v64, v93
	v_fmac_f32_e32 v89, 0x3f167918, v66
	v_fma_f32 v90, v90, v0, -v150
	v_fmac_f32_e32 v92, 0x3e9e377a, v64
	v_fmac_f32_e32 v89, 0x3e9e377a, v64
	v_add_f32_e32 v64, v65, v61
	v_fma_f32 v64, -0.5, v64, v90
	v_add_f32_e32 v97, v97, v98
	v_sub_f32_e32 v66, v101, v95
	v_mov_b32_e32 v93, v64
	v_fmac_f32_e32 v108, 0x3e9e377a, v97
	v_fmac_f32_e32 v88, 0x3e9e377a, v97
	;; [unrolled: 1-line block ×3, first 2 shown]
	v_sub_f32_e32 v96, v105, v119
	v_sub_f32_e32 v97, v100, v65
	;; [unrolled: 1-line block ×3, first 2 shown]
	v_fmac_f32_e32 v64, 0xbf737871, v66
	v_fmac_f32_e32 v93, 0x3f167918, v96
	v_add_f32_e32 v97, v97, v98
	v_fmac_f32_e32 v64, 0xbf167918, v96
	v_fmac_f32_e32 v93, 0x3e9e377a, v97
	;; [unrolled: 1-line block ×3, first 2 shown]
	v_add_f32_e32 v97, v100, v94
	v_add_f32_e32 v60, v90, v100
	v_fmac_f32_e32 v90, -0.5, v97
	v_mov_b32_e32 v103, v90
	v_fmac_f32_e32 v103, 0xbf737871, v96
	v_fmac_f32_e32 v90, 0x3f737871, v96
	;; [unrolled: 1-line block ×4, first 2 shown]
	v_add_f32_e32 v66, v151, v101
	v_add_f32_e32 v66, v66, v105
	;; [unrolled: 1-line block ×7, first 2 shown]
	v_fma_f32 v66, -0.5, v66, v151
	v_add_f32_e32 v60, v60, v94
	v_sub_f32_e32 v98, v61, v94
	v_sub_f32_e32 v94, v100, v94
	v_mov_b32_e32 v99, v66
	v_sub_f32_e32 v97, v65, v100
	v_fmac_f32_e32 v99, 0xbf737871, v94
	v_sub_f32_e32 v61, v65, v61
	v_sub_f32_e32 v65, v101, v105
	v_sub_f32_e32 v96, v95, v119
	v_fmac_f32_e32 v66, 0x3f737871, v94
	v_fmac_f32_e32 v99, 0xbf167918, v61
	v_add_f32_e32 v65, v65, v96
	v_fmac_f32_e32 v66, 0x3f167918, v61
	v_fmac_f32_e32 v99, 0x3e9e377a, v65
	;; [unrolled: 1-line block ×3, first 2 shown]
	v_add_f32_e32 v65, v101, v95
	v_fmac_f32_e32 v151, -0.5, v65
	v_mov_b32_e32 v65, v151
	v_add_f32_e32 v97, v97, v98
	v_fmac_f32_e32 v65, 0x3f737871, v61
	v_sub_f32_e32 v96, v105, v101
	v_sub_f32_e32 v95, v119, v95
	v_fmac_f32_e32 v151, 0xbf737871, v61
	v_fmac_f32_e32 v103, 0x3e9e377a, v97
	;; [unrolled: 1-line block ×3, first 2 shown]
	v_add_f32_e32 v95, v96, v95
	v_fmac_f32_e32 v151, 0x3f167918, v94
	v_fmac_f32_e32 v90, 0x3e9e377a, v97
	;; [unrolled: 1-line block ×4, first 2 shown]
	v_mul_f32_e32 v61, 0x3f167918, v99
	v_mul_f32_e32 v97, 0x3f4f1bbd, v64
	;; [unrolled: 1-line block ×3, first 2 shown]
	v_fmac_f32_e32 v61, 0x3f4f1bbd, v93
	v_mul_f32_e32 v94, 0x3f737871, v65
	v_mul_f32_e32 v95, 0x3e9e377a, v90
	v_fma_f32 v127, v66, s9, -v97
	v_mul_f32_e32 v93, 0xbf167918, v93
	v_fmac_f32_e32 v135, 0x3e9e377a, v65
	v_mul_f32_e32 v65, 0x3e9e377a, v151
	v_mul_f32_e32 v66, 0x3f4f1bbd, v66
	v_fmac_f32_e32 v94, 0x3e9e377a, v103
	v_fma_f32 v95, v151, s8, -v95
	v_fmac_f32_e32 v93, 0x3f4f1bbd, v99
	v_fma_f32 v65, v90, s2, -v65
	v_fma_f32 v90, v64, s3, -v66
	v_add_f32_e32 v96, v62, v60
	v_add_f32_e32 v98, v67, v61
	;; [unrolled: 1-line block ×10, first 2 shown]
	v_sub_f32_e32 v106, v62, v60
	v_sub_f32_e32 v119, v67, v61
	;; [unrolled: 1-line block ×10, first 2 shown]
	ds_write2_b64 v125, v[68:69], v[70:71] offset1:204
	ds_write2_b64 v134, v[72:73], v[74:75] offset0:24 offset1:228
	ds_write2_b64 v133, v[76:77], v[78:79] offset0:48 offset1:252
	;; [unrolled: 1-line block ×4, first 2 shown]
	s_and_saveexec_b64 s[2:3], vcc
	s_cbranch_execz .LBB0_11
; %bb.10:
	v_add_u32_e32 v60, 0x400, v125
	ds_write2_b64 v60, v[96:97], v[98:99] offset0:42 offset1:246
	v_add_u32_e32 v60, 0x1200, v125
	ds_write2_b64 v60, v[100:101], v[102:103] offset0:2 offset1:206
	;; [unrolled: 2-line block ×5, first 2 shown]
.LBB0_11:
	s_or_b64 exec, exec, s[2:3]
	s_waitcnt lgkmcnt(0)
	s_barrier
	s_and_saveexec_b64 s[8:9], s[0:1]
	s_cbranch_execz .LBB0_13
; %bb.12:
	s_add_u32 s10, s12, 0x3fc0
	s_addc_u32 s11, s13, 0
	global_load_dwordx2 v[60:61], v124, s[10:11]
	v_mov_b32_e32 v88, s11
	v_add_co_u32_e64 v90, s[2:3], s10, v124
	s_movk_i32 s16, 0x1000
	v_addc_co_u32_e64 v91, s[2:3], 0, v88, s[2:3]
	v_add_co_u32_e64 v88, s[2:3], s16, v90
	v_addc_co_u32_e64 v89, s[2:3], 0, v91, s[2:3]
	global_load_dwordx2 v[121:122], v124, s[10:11] offset:960
	global_load_dwordx2 v[145:146], v124, s[10:11] offset:1920
	global_load_dwordx2 v[147:148], v124, s[10:11] offset:2880
	global_load_dwordx2 v[149:150], v124, s[10:11] offset:3840
	global_load_dwordx2 v[151:152], v[88:89], off offset:704
	global_load_dwordx2 v[153:154], v[88:89], off offset:1664
	;; [unrolled: 1-line block ×4, first 2 shown]
	s_movk_i32 s17, 0x2000
	v_add_co_u32_e64 v88, s[2:3], s17, v90
	v_addc_co_u32_e64 v89, s[2:3], 0, v91, s[2:3]
	global_load_dwordx2 v[159:160], v[88:89], off offset:448
	global_load_dwordx2 v[161:162], v[88:89], off offset:1408
	;; [unrolled: 1-line block ×4, first 2 shown]
	s_movk_i32 s2, 0x3000
	v_add_co_u32_e64 v88, s[2:3], s2, v90
	v_addc_co_u32_e64 v89, s[2:3], 0, v91, s[2:3]
	global_load_dwordx2 v[167:168], v[88:89], off offset:192
	global_load_dwordx2 v[169:170], v[88:89], off offset:1152
	ds_read_b64 v[90:91], v125
	v_or_b32_e32 v92, 0x3c00, v124
	global_load_dwordx2 v[171:172], v[88:89], off offset:2112
	global_load_dwordx2 v[173:174], v92, s[10:11]
	v_add_u32_e32 v108, 0x800, v124
	v_add_u32_e32 v126, 0x1000, v124
	;; [unrolled: 1-line block ×4, first 2 shown]
	s_waitcnt vmcnt(16) lgkmcnt(0)
	v_mul_f32_e32 v88, v91, v61
	v_mul_f32_e32 v89, v90, v61
	v_fma_f32 v88, v90, v60, -v88
	v_fmac_f32_e32 v89, v91, v60
	ds_write_b64 v125, v[88:89]
	ds_read2_b64 v[88:91], v124 offset0:120 offset1:240
	ds_read2_b64 v[92:95], v108 offset0:104 offset1:224
	;; [unrolled: 1-line block ×5, first 2 shown]
	s_waitcnt vmcnt(15) lgkmcnt(4)
	v_mul_f32_e32 v60, v89, v122
	v_mul_f32_e32 v61, v88, v122
	s_waitcnt vmcnt(14)
	v_mul_f32_e32 v176, v91, v146
	v_mul_f32_e32 v122, v90, v146
	s_waitcnt vmcnt(13) lgkmcnt(3)
	v_mul_f32_e32 v177, v93, v148
	v_mul_f32_e32 v146, v92, v148
	s_waitcnt vmcnt(12)
	v_mul_f32_e32 v178, v95, v150
	v_mul_f32_e32 v148, v94, v150
	;; [unrolled: 6-line block ×4, first 2 shown]
	v_fma_f32 v60, v88, v121, -v60
	v_fmac_f32_e32 v61, v89, v121
	v_fma_f32 v121, v90, v145, -v176
	v_fmac_f32_e32 v122, v91, v145
	;; [unrolled: 2-line block ×8, first 2 shown]
	ds_write2_b64 v124, v[60:61], v[121:122] offset0:120 offset1:240
	ds_write2_b64 v108, v[145:146], v[147:148] offset0:104 offset1:224
	ds_write2_b64 v126, v[149:150], v[151:152] offset0:88 offset1:208
	ds_write2_b64 v127, v[153:154], v[155:156] offset0:72 offset1:192
	v_add_u32_e32 v108, 0x2800, v124
	ds_read2_b64 v[88:91], v108 offset0:40 offset1:160
	s_waitcnt vmcnt(7) lgkmcnt(5)
	v_mul_f32_e32 v158, v142, v160
	v_mul_f32_e32 v93, v141, v160
	s_waitcnt vmcnt(6)
	v_mul_f32_e32 v60, v144, v162
	v_mul_f32_e32 v61, v143, v162
	v_fma_f32 v92, v141, v159, -v158
	v_fmac_f32_e32 v93, v142, v159
	v_fma_f32 v60, v143, v161, -v60
	v_fmac_f32_e32 v61, v144, v161
	ds_write2_b64 v175, v[92:93], v[60:61] offset0:56 offset1:176
	s_waitcnt vmcnt(5) lgkmcnt(1)
	v_mul_f32_e32 v60, v89, v164
	v_mul_f32_e32 v61, v88, v164
	v_add_u32_e32 v121, 0x3000, v124
	v_fma_f32 v60, v88, v163, -v60
	v_fmac_f32_e32 v61, v89, v163
	s_waitcnt vmcnt(4)
	v_mul_f32_e32 v88, v91, v166
	ds_read2_b64 v[92:95], v121 offset0:24 offset1:144
	v_mul_f32_e32 v89, v90, v166
	v_fma_f32 v88, v90, v165, -v88
	v_fmac_f32_e32 v89, v91, v165
	ds_write2_b64 v108, v[60:61], v[88:89] offset0:40 offset1:160
	v_add_u32_e32 v108, 0x3800, v124
	ds_read2_b64 v[88:91], v108 offset0:8 offset1:128
	s_waitcnt vmcnt(3) lgkmcnt(2)
	v_mul_f32_e32 v60, v93, v168
	v_mul_f32_e32 v61, v92, v168
	v_fma_f32 v60, v92, v167, -v60
	v_fmac_f32_e32 v61, v93, v167
	s_waitcnt vmcnt(2)
	v_mul_f32_e32 v92, v95, v170
	v_mul_f32_e32 v93, v94, v170
	v_fma_f32 v92, v94, v169, -v92
	v_fmac_f32_e32 v93, v95, v169
	ds_write2_b64 v121, v[60:61], v[92:93] offset0:24 offset1:144
	s_waitcnt vmcnt(1) lgkmcnt(1)
	v_mul_f32_e32 v60, v89, v172
	v_mul_f32_e32 v61, v88, v172
	v_fma_f32 v60, v88, v171, -v60
	v_fmac_f32_e32 v61, v89, v171
	s_waitcnt vmcnt(0)
	v_mul_f32_e32 v88, v91, v174
	v_mul_f32_e32 v89, v90, v174
	v_fma_f32 v88, v90, v173, -v88
	v_fmac_f32_e32 v89, v91, v173
	ds_write2_b64 v108, v[60:61], v[88:89] offset0:8 offset1:128
.LBB0_13:
	s_or_b64 exec, exec, s[8:9]
	s_waitcnt lgkmcnt(0)
	s_barrier
	s_and_saveexec_b64 s[2:3], s[0:1]
	s_cbranch_execz .LBB0_15
; %bb.14:
	v_add_u32_e32 v60, 0x400, v125
	ds_read2_b64 v[72:75], v60 offset0:112 offset1:232
	v_add_u32_e32 v60, 0xc00, v125
	ds_read2_b64 v[76:79], v60 offset0:96 offset1:216
	;; [unrolled: 2-line block ×6, first 2 shown]
	v_add_u32_e32 v60, 0x3400, v125
	ds_read2_b64 v[68:71], v125 offset1:120
	ds_read2_b64 v[104:107], v60 offset0:16 offset1:136
	ds_read_b64 v[119:120], v125 offset:15360
.LBB0_15:
	s_or_b64 exec, exec, s[2:3]
	s_waitcnt lgkmcnt(0)
	v_sub_f32_e32 v176, v71, v120
	v_add_f32_e32 v133, v119, v70
	v_add_f32_e32 v186, v120, v71
	s_mov_b32 s8, 0x3f6eb680
	v_mul_f32_e32 v127, 0xbeb8f4ab, v176
	v_sub_f32_e32 v190, v73, v107
	v_mul_f32_e32 v137, 0x3f6eb680, v186
	v_fma_f32 v60, v133, s8, -v127
	s_mov_b32 s9, 0x3f3d2fb0
	v_add_f32_e32 v135, v106, v72
	v_add_f32_e32 v200, v107, v73
	v_mul_f32_e32 v141, 0xbf2c7751, v190
	v_sub_f32_e32 v134, v70, v119
	v_add_f32_e32 v60, v68, v60
	v_mov_b32_e32 v61, v137
	v_mul_f32_e32 v144, 0x3f3d2fb0, v200
	v_fma_f32 v108, v135, s9, -v141
	v_fmac_f32_e32 v61, 0xbeb8f4ab, v134
	v_mul_f32_e32 v139, 0xbf2c7751, v176
	v_sub_f32_e32 v136, v72, v106
	v_add_f32_e32 v60, v108, v60
	v_mov_b32_e32 v108, v144
	v_add_f32_e32 v61, v69, v61
	v_mul_f32_e32 v142, 0x3f3d2fb0, v186
	v_fma_f32 v88, v133, s9, -v139
	s_mov_b32 s11, 0x3dbcf732
	v_fmac_f32_e32 v108, 0xbf2c7751, v136
	v_mul_f32_e32 v148, 0xbf7ee86f, v190
	v_add_f32_e32 v88, v68, v88
	v_mov_b32_e32 v89, v142
	v_add_f32_e32 v61, v108, v61
	v_mul_f32_e32 v151, 0x3dbcf732, v200
	v_fma_f32 v108, v135, s11, -v148
	v_fmac_f32_e32 v89, 0xbf2c7751, v134
	s_mov_b32 s10, 0x3ee437d1
	v_mul_f32_e32 v145, 0xbf65296c, v176
	v_add_f32_e32 v88, v108, v88
	v_mov_b32_e32 v108, v151
	v_add_f32_e32 v89, v69, v89
	v_mul_f32_e32 v150, 0x3ee437d1, v186
	v_fma_f32 v90, v133, s10, -v145
	v_fmac_f32_e32 v108, 0xbf7ee86f, v136
	v_mul_f32_e32 v157, 0xbf4c4adb, v190
	v_add_f32_e32 v90, v68, v90
	v_mov_b32_e32 v91, v150
	v_add_f32_e32 v89, v108, v89
	v_mul_f32_e32 v166, 0xbf1a4643, v200
	v_fma_f32 v108, v135, s18, -v157
	v_fmac_f32_e32 v91, 0xbf65296c, v134
	;; [unrolled: 7-line block ×3, first 2 shown]
	s_mov_b32 s17, 0xbf7ba420
	v_mul_f32_e32 v170, 0xbe3c28d5, v190
	v_add_f32_e32 v92, v68, v92
	v_mov_b32_e32 v93, v160
	v_add_f32_e32 v91, v108, v91
	v_mul_f32_e32 v175, 0xbf7ba420, v200
	v_fma_f32 v108, v135, s17, -v170
	v_fmac_f32_e32 v93, 0xbf7ee86f, v134
	s_mov_b32 s16, 0xbe8c1d8e
	v_mul_f32_e32 v169, 0xbf763a35, v176
	v_add_f32_e32 v92, v108, v92
	v_mov_b32_e32 v108, v175
	v_add_f32_e32 v93, v69, v93
	v_mul_f32_e32 v177, 0xbe8c1d8e, v186
	v_fma_f32 v94, v133, s16, -v169
	v_fmac_f32_e32 v108, 0xbe3c28d5, v136
	v_mul_f32_e32 v183, 0x3f06c442, v190
	v_add_f32_e32 v94, v68, v94
	v_mov_b32_e32 v95, v177
	v_add_f32_e32 v93, v108, v93
	v_mul_f32_e32 v191, 0xbf59a7d5, v200
	v_fma_f32 v108, v135, s19, -v183
	v_fmac_f32_e32 v95, 0xbf763a35, v134
	v_add_f32_e32 v94, v108, v94
	v_mov_b32_e32 v108, v191
	v_sub_f32_e32 v203, v75, v105
	v_add_f32_e32 v95, v69, v95
	v_fmac_f32_e32 v108, 0x3f06c442, v136
	v_add_f32_e32 v138, v104, v74
	v_add_f32_e32 v212, v105, v75
	v_mul_f32_e32 v149, 0xbf65296c, v203
	v_add_f32_e32 v95, v108, v95
	v_mul_f32_e32 v152, 0x3ee437d1, v212
	v_fma_f32 v108, v138, s10, -v149
	v_sub_f32_e32 v140, v74, v104
	v_add_f32_e32 v60, v108, v60
	v_mov_b32_e32 v108, v152
	v_fmac_f32_e32 v108, 0xbf65296c, v140
	v_mul_f32_e32 v158, 0xbf4c4adb, v203
	v_add_f32_e32 v61, v108, v61
	v_mul_f32_e32 v163, 0xbf1a4643, v212
	v_fma_f32 v108, v138, s18, -v158
	v_add_f32_e32 v88, v108, v88
	v_mov_b32_e32 v108, v163
	v_fmac_f32_e32 v108, 0xbf4c4adb, v140
	v_mul_f32_e32 v168, 0x3e3c28d5, v203
	v_add_f32_e32 v89, v108, v89
	v_mul_f32_e32 v174, 0xbf7ba420, v212
	v_fma_f32 v108, v138, s17, -v168
	v_add_f32_e32 v90, v108, v90
	v_mov_b32_e32 v108, v174
	v_fmac_f32_e32 v108, 0x3e3c28d5, v140
	v_mul_f32_e32 v182, 0x3f763a35, v203
	v_add_f32_e32 v91, v108, v91
	v_mul_f32_e32 v189, 0xbe8c1d8e, v212
	v_fma_f32 v108, v138, s16, -v182
	v_add_f32_e32 v92, v108, v92
	v_mov_b32_e32 v108, v189
	v_fmac_f32_e32 v108, 0x3f763a35, v140
	v_mul_f32_e32 v196, 0x3f2c7751, v203
	v_add_f32_e32 v93, v108, v93
	v_mul_f32_e32 v202, 0x3f3d2fb0, v212
	v_fma_f32 v108, v138, s9, -v196
	v_add_f32_e32 v94, v108, v94
	v_mov_b32_e32 v108, v202
	v_sub_f32_e32 v215, v77, v103
	v_fmac_f32_e32 v108, 0x3f2c7751, v140
	v_add_f32_e32 v143, v102, v76
	v_add_f32_e32 v222, v103, v77
	v_mul_f32_e32 v153, 0xbf7ee86f, v215
	v_add_f32_e32 v95, v108, v95
	v_mul_f32_e32 v159, 0x3dbcf732, v222
	v_fma_f32 v108, v143, s11, -v153
	v_sub_f32_e32 v146, v76, v102
	v_add_f32_e32 v60, v108, v60
	v_mov_b32_e32 v108, v159
	v_fmac_f32_e32 v108, 0xbf7ee86f, v146
	v_mul_f32_e32 v167, 0xbe3c28d5, v215
	v_add_f32_e32 v61, v108, v61
	v_mul_f32_e32 v173, 0xbf7ba420, v222
	v_fma_f32 v108, v143, s17, -v167
	v_add_f32_e32 v88, v108, v88
	v_mov_b32_e32 v108, v173
	v_fmac_f32_e32 v108, 0xbe3c28d5, v146
	v_mul_f32_e32 v181, 0x3f763a35, v215
	v_add_f32_e32 v89, v108, v89
	v_mul_f32_e32 v188, 0xbe8c1d8e, v222
	v_fma_f32 v108, v143, s16, -v181
	v_add_f32_e32 v90, v108, v90
	v_mov_b32_e32 v108, v188
	v_fmac_f32_e32 v108, 0x3f763a35, v146
	v_mul_f32_e32 v195, 0x3eb8f4ab, v215
	v_add_f32_e32 v91, v108, v91
	v_mul_f32_e32 v201, 0x3f6eb680, v222
	v_fma_f32 v108, v143, s8, -v195
	v_add_f32_e32 v92, v108, v92
	v_mov_b32_e32 v108, v201
	v_fmac_f32_e32 v108, 0x3eb8f4ab, v146
	v_mul_f32_e32 v208, 0xbf65296c, v215
	v_add_f32_e32 v93, v108, v93
	v_mul_f32_e32 v214, 0x3ee437d1, v222
	v_fma_f32 v108, v143, s10, -v208
	v_add_f32_e32 v94, v108, v94
	v_mov_b32_e32 v108, v214
	v_sub_f32_e32 v226, v79, v101
	;; [unrolled: 39-line block ×5, first 2 shown]
	v_fmac_f32_e32 v90, 0xbeb8f4ab, v172
	v_add_f32_e32 v178, v86, v84
	v_add_f32_e32 v250, v87, v85
	v_mul_f32_e32 v204, 0xbe3c28d5, v248
	v_add_f32_e32 v126, v90, v95
	v_mul_f32_e32 v209, 0xbf7ba420, v250
	v_fma_f32 v90, v178, s17, -v204
	v_sub_f32_e32 v184, v84, v86
	v_add_f32_e32 v60, v90, v60
	v_mov_b32_e32 v90, v209
	v_fmac_f32_e32 v90, 0xbe3c28d5, v184
	v_mul_f32_e32 v216, 0x3eb8f4ab, v248
	v_mul_f32_e32 v240, 0x3f2c7751, v248
	v_add_f32_e32 v61, v90, v61
	v_mul_f32_e32 v220, 0x3f6eb680, v250
	v_fma_f32 v90, v178, s8, -v216
	v_mul_f32_e32 v244, 0x3f3d2fb0, v250
	v_fma_f32 v94, v178, s9, -v240
	v_add_f32_e32 v90, v90, v88
	v_mov_b32_e32 v88, v220
	v_add_f32_e32 v94, v94, v92
	v_mov_b32_e32 v92, v244
	v_fmac_f32_e32 v88, 0x3eb8f4ab, v184
	v_mul_f32_e32 v236, 0xbf59a7d5, v250
	v_fmac_f32_e32 v92, 0x3f2c7751, v184
	v_mul_f32_e32 v249, 0xbf1a4643, v250
	v_add_f32_e32 v91, v88, v89
	v_mul_f32_e32 v230, 0xbf06c442, v248
	v_mov_b32_e32 v89, v236
	v_add_f32_e32 v95, v92, v93
	v_mul_f32_e32 v246, 0xbf4c4adb, v248
	v_mov_b32_e32 v93, v249
	v_fma_f32 v88, v178, s19, -v230
	v_fmac_f32_e32 v89, 0xbf06c442, v184
	v_fma_f32 v92, v178, s18, -v246
	v_fmac_f32_e32 v93, 0xbf4c4adb, v184
	v_add_f32_e32 v88, v88, v108
	v_add_f32_e32 v89, v89, v121
	;; [unrolled: 1-line block ×4, first 2 shown]
	s_barrier
	s_and_saveexec_b64 s[2:3], s[0:1]
	s_cbranch_execz .LBB0_17
; %bb.16:
	buffer_store_dword v127, off, s[20:23], 0 offset:40 ; 4-byte Folded Spill
	buffer_store_dword v227, off, s[20:23], 0 offset:4 ; 4-byte Folded Spill
	s_nop 0
	buffer_store_dword v228, off, s[20:23], 0 offset:8 ; 4-byte Folded Spill
	v_mul_f32_e32 v126, 0xbf06c442, v134
	v_mov_b32_e32 v121, v126
	v_mul_f32_e32 v127, 0x3f65296c, v136
	v_fmac_f32_e32 v121, 0xbf59a7d5, v186
	v_mov_b32_e32 v122, v127
	v_add_f32_e32 v121, v69, v121
	v_fmac_f32_e32 v122, 0x3ee437d1, v200
	v_mul_f32_e32 v227, 0xbf7ee86f, v140
	v_add_f32_e32 v121, v122, v121
	v_mov_b32_e32 v122, v227
	v_fmac_f32_e32 v122, 0x3dbcf732, v212
	v_add_f32_e32 v121, v122, v121
	v_mul_f32_e32 v108, 0xbeb8f4ab, v154
	buffer_store_dword v137, off, s[20:23], 0 offset:44 ; 4-byte Folded Spill
	v_mul_f32_e32 v137, 0xbe3c28d5, v161
	v_fma_f32 v126, v186, s19, -v126
	v_mul_f32_e32 v255, 0x3f2c7751, v172
	v_add_f32_e32 v126, v69, v126
	v_fma_f32 v127, v200, s10, -v127
	v_add_f32_e32 v126, v127, v126
	v_fma_f32 v127, v212, s11, -v227
	v_mul_f32_e32 v232, 0xbf763a35, v184
	v_add_f32_e32 v126, v127, v126
	v_mul_f32_e32 v229, 0xbf06c442, v176
	buffer_store_dword v221, off, s[20:23], 0 offset:32 ; 4-byte Folded Spill
	v_mul_f32_e32 v221, 0x3f65296c, v190
	v_fma_f32 v251, v135, s10, -v221
	buffer_store_dword v132, off, s[20:23], 0 offset:28 ; 4-byte Folded Spill
	v_mul_f32_e32 v132, 0xbf7ee86f, v203
	v_fmac_f32_e32 v221, 0x3ee437d1, v135
	v_mul_f32_e32 v234, 0x3f4c4adb, v215
	buffer_store_dword v131, off, s[20:23], 0 offset:24 ; 4-byte Folded Spill
	v_mul_f32_e32 v131, 0xbeb8f4ab, v226
	buffer_store_dword v130, off, s[20:23], 0 offset:20 ; 4-byte Folded Spill
	;; [unrolled: 2-line block ×4, first 2 shown]
	v_mul_f32_e32 v128, 0xbf763a35, v248
	v_mul_f32_e32 v253, 0xbe3c28d5, v134
	;; [unrolled: 1-line block ×3, first 2 shown]
	v_mov_b32_e32 v252, v254
	v_fmac_f32_e32 v252, 0x3f6eb680, v200
	buffer_store_dword v139, off, s[20:23], 0 offset:64 ; 4-byte Folded Spill
	v_mul_f32_e32 v139, 0xbf06c442, v140
	v_fma_f32 v254, v200, s8, -v254
	buffer_store_dword v123, off, s[20:23], 0 ; 4-byte Folded Spill
	v_mul_f32_e32 v123, 0x3f2c7751, v146
	buffer_store_dword v149, off, s[20:23], 0 offset:52 ; 4-byte Folded Spill
	v_mul_f32_e32 v149, 0x3eb8f4ab, v190
	v_mul_f32_e32 v190, 0x3f763a35, v190
	buffer_store_dword v148, off, s[20:23], 0 offset:72 ; 4-byte Folded Spill
	v_mul_f32_e32 v148, 0xbe3c28d5, v176
	buffer_store_dword v151, off, s[20:23], 0 offset:88 ; 4-byte Folded Spill
	v_mul_f32_e32 v151, 0xbf06c442, v203
	v_mul_f32_e32 v203, 0xbeb8f4ab, v203
	buffer_store_dword v152, off, s[20:23], 0 offset:68 ; 4-byte Folded Spill
	v_mul_f32_e32 v152, 0x3f2c7751, v215
	;; [unrolled: 3-line block ×4, first 2 shown]
	buffer_store_dword v142, off, s[20:23], 0 offset:80 ; 4-byte Folded Spill
	v_mul_f32_e32 v142, 0x3f65296c, v161
	buffer_store_dword v144, off, s[20:23], 0 offset:56 ; 4-byte Folded Spill
	v_mul_f32_e32 v144, 0xbf763a35, v172
	buffer_store_dword v163, off, s[20:23], 0 offset:92 ; 4-byte Folded Spill
	v_mov_b32_e32 v163, v156
	v_mul_f32_e32 v156, 0x3f65296c, v238
	buffer_store_dword v145, off, s[20:23], 0 offset:96 ; 4-byte Folded Spill
	v_mul_f32_e32 v145, 0x3f7ee86f, v184
	buffer_store_dword v150, off, s[20:23], 0 offset:104 ; 4-byte Folded Spill
	v_fma_f32 v150, v135, s8, -v149
	v_fmac_f32_e32 v149, 0x3f6eb680, v135
	buffer_store_dword v159, off, s[20:23], 0 offset:76 ; 4-byte Folded Spill
	v_mul_f32_e32 v159, 0xbe3c28d5, v154
	buffer_store_dword v228, off, s[20:23], 0 offset:36 ; 4-byte Folded Spill
	v_mul_f32_e32 v228, 0x3f4c4adb, v146
	v_mov_b32_e32 v122, v228
	v_fmac_f32_e32 v122, 0xbf1a4643, v222
	v_add_f32_e32 v121, v122, v121
	v_mov_b32_e32 v122, v108
	v_fmac_f32_e32 v122, 0x3f6eb680, v235
	v_add_f32_e32 v121, v122, v121
	;; [unrolled: 3-line block ×3, first 2 shown]
	v_mov_b32_e32 v122, v255
	v_fmac_f32_e32 v122, 0x3f3d2fb0, v247
	v_fma_f32 v127, v222, s18, -v228
	v_add_f32_e32 v121, v122, v121
	v_mov_b32_e32 v122, v232
	v_add_f32_e32 v126, v127, v126
	v_fma_f32 v108, v235, s8, -v108
	v_fmac_f32_e32 v122, 0xbe8c1d8e, v250
	v_add_f32_e32 v108, v108, v126
	v_fma_f32 v126, v242, s17, -v137
	v_add_f32_e32 v122, v122, v121
	v_fma_f32 v121, v133, s19, -v229
	;; [unrolled: 2-line block ×3, first 2 shown]
	v_fmac_f32_e32 v229, 0xbf59a7d5, v133
	v_add_f32_e32 v121, v68, v121
	v_add_f32_e32 v108, v126, v108
	;; [unrolled: 1-line block ×4, first 2 shown]
	v_fma_f32 v251, v138, s11, -v132
	v_add_f32_e32 v126, v221, v126
	v_fmac_f32_e32 v132, 0x3dbcf732, v138
	v_add_f32_e32 v121, v251, v121
	v_fma_f32 v251, v143, s18, -v234
	v_add_f32_e32 v126, v132, v126
	v_fmac_f32_e32 v234, 0xbf1a4643, v143
	v_add_f32_e32 v121, v251, v121
	;; [unrolled: 4-line block ×3, first 2 shown]
	v_fma_f32 v251, v155, s17, -v130
	v_add_f32_e32 v126, v131, v126
	v_fma_f32 v127, v250, s16, -v232
	v_fmac_f32_e32 v130, 0xbf7ba420, v155
	v_add_f32_e32 v121, v251, v121
	v_fma_f32 v251, v165, s9, -v129
	v_add_f32_e32 v228, v127, v108
	v_add_f32_e32 v108, v130, v126
	v_fmac_f32_e32 v129, 0x3f3d2fb0, v165
	v_add_f32_e32 v121, v251, v121
	v_fma_f32 v251, v178, s16, -v128
	v_add_f32_e32 v108, v129, v108
	v_fmac_f32_e32 v128, 0xbe8c1d8e, v178
	v_add_f32_e32 v227, v128, v108
	v_mul_f32_e32 v108, 0xbf1a4643, v186
	v_mov_b32_e32 v126, v108
	v_mul_f32_e32 v128, 0xbe8c1d8e, v200
	v_fmac_f32_e32 v126, 0x3f4c4adb, v134
	v_mov_b32_e32 v127, v128
	v_add_f32_e32 v126, v69, v126
	v_fmac_f32_e32 v127, 0xbf763a35, v136
	v_mul_f32_e32 v129, 0x3f6eb680, v212
	v_add_f32_e32 v126, v127, v126
	v_mov_b32_e32 v127, v129
	v_fmac_f32_e32 v127, 0x3eb8f4ab, v140
	v_mul_f32_e32 v130, 0xbf59a7d5, v222
	v_add_f32_e32 v121, v251, v121
	v_mov_b32_e32 v251, v253
	v_add_f32_e32 v126, v127, v126
	v_mov_b32_e32 v127, v130
	v_fmac_f32_e32 v251, 0xbf7ba420, v186
	v_fma_f32 v253, v186, s17, -v253
	v_fmac_f32_e32 v127, 0x3f06c442, v146
	v_mul_f32_e32 v186, 0x3dbcf732, v235
	v_add_f32_e32 v126, v127, v126
	v_mov_b32_e32 v127, v186
	v_add_f32_e32 v251, v69, v251
	v_fmac_f32_e32 v127, 0xbf7ee86f, v154
	v_mul_f32_e32 v200, 0x3f3d2fb0, v242
	v_add_f32_e32 v251, v252, v251
	v_mov_b32_e32 v252, v139
	v_add_f32_e32 v126, v127, v126
	v_mov_b32_e32 v127, v200
	v_fmac_f32_e32 v252, 0xbf59a7d5, v212
	v_fma_f32 v139, v212, s19, -v139
	v_fmac_f32_e32 v127, 0x3f2c7751, v161
	v_mul_f32_e32 v212, 0xbf7ba420, v247
	v_add_f32_e32 v251, v252, v251
	v_mov_b32_e32 v252, v123
	v_add_f32_e32 v126, v127, v126
	v_mov_b32_e32 v127, v212
	v_fmac_f32_e32 v252, 0x3f3d2fb0, v222
	v_fma_f32 v123, v222, s9, -v123
	v_fmac_f32_e32 v127, 0x3e3c28d5, v172
	v_mul_f32_e32 v222, 0x3ee437d1, v250
	v_add_f32_e32 v126, v127, v126
	v_mov_b32_e32 v127, v222
	v_fmac_f32_e32 v127, 0xbf65296c, v184
	v_mul_f32_e32 v232, 0xbf4c4adb, v176
	v_add_f32_e32 v127, v127, v126
	v_mov_b32_e32 v126, v232
	v_fmac_f32_e32 v126, 0xbf1a4643, v133
	v_mov_b32_e32 v176, v190
	v_add_f32_e32 v126, v68, v126
	v_fmac_f32_e32 v176, 0xbe8c1d8e, v135
	v_add_f32_e32 v126, v176, v126
	v_mov_b32_e32 v176, v203
	v_fmac_f32_e32 v176, 0x3f6eb680, v138
	v_add_f32_e32 v126, v176, v126
	v_mov_b32_e32 v176, v215
	;; [unrolled: 3-line block ×3, first 2 shown]
	v_fmac_f32_e32 v176, 0x3dbcf732, v147
	v_mul_f32_e32 v234, 0xbf2c7751, v238
	v_add_f32_e32 v251, v252, v251
	v_mov_b32_e32 v252, v141
	v_add_f32_e32 v126, v176, v126
	v_mov_b32_e32 v176, v234
	v_fmac_f32_e32 v252, 0xbf1a4643, v235
	v_fma_f32 v141, v235, s18, -v141
	v_fmac_f32_e32 v176, 0x3f3d2fb0, v155
	v_mul_f32_e32 v235, 0xbe3c28d5, v243
	v_add_f32_e32 v251, v252, v251
	v_mov_b32_e32 v252, v142
	v_add_f32_e32 v126, v176, v126
	v_mov_b32_e32 v176, v235
	v_fmac_f32_e32 v252, 0x3ee437d1, v242
	v_fmac_f32_e32 v176, 0xbf7ba420, v165
	v_mul_f32_e32 v238, 0x3f65296c, v248
	v_add_f32_e32 v251, v252, v251
	v_mov_b32_e32 v252, v144
	v_add_f32_e32 v126, v176, v126
	v_mov_b32_e32 v176, v238
	v_fmac_f32_e32 v252, 0xbe8c1d8e, v247
	v_fmac_f32_e32 v176, 0x3ee437d1, v178
	v_add_f32_e32 v251, v252, v251
	v_mov_b32_e32 v252, v145
	v_add_f32_e32 v126, v176, v126
	v_mul_f32_e32 v176, 0xbf763a35, v134
	v_fmac_f32_e32 v252, 0x3dbcf732, v250
	v_sub_f32_e32 v176, v177, v176
	v_mul_f32_e32 v177, 0x3f06c442, v136
	v_add_f32_e32 v252, v252, v251
	v_fma_f32 v251, v133, s17, -v148
	v_fmac_f32_e32 v148, 0xbf7ba420, v133
	v_sub_f32_e32 v177, v191, v177
	v_add_f32_e32 v176, v69, v176
	v_add_f32_e32 v251, v68, v251
	;; [unrolled: 1-line block ×4, first 2 shown]
	v_mul_f32_e32 v177, 0x3f2c7751, v140
	v_add_f32_e32 v150, v150, v251
	v_fma_f32 v251, v138, s19, -v151
	v_add_f32_e32 v148, v149, v148
	v_fmac_f32_e32 v151, 0xbf59a7d5, v138
	v_sub_f32_e32 v177, v202, v177
	v_add_f32_e32 v150, v251, v150
	v_fma_f32 v251, v143, s9, -v152
	v_add_f32_e32 v148, v151, v148
	v_fmac_f32_e32 v152, 0x3f3d2fb0, v143
	v_add_f32_e32 v176, v177, v176
	v_mul_f32_e32 v177, 0xbf65296c, v146
	v_add_f32_e32 v150, v251, v150
	v_fma_f32 v251, v147, s18, -v153
	v_add_f32_e32 v148, v152, v148
	v_fmac_f32_e32 v153, 0xbf1a4643, v147
	v_sub_f32_e32 v177, v214, v177
	v_add_f32_e32 v148, v153, v148
	v_mul_f32_e32 v153, 0x3f7ee86f, v161
	v_add_f32_e32 v176, v177, v176
	v_sub_f32_e32 v159, v225, v159
	v_mul_f32_e32 v255, 0xbeb8f4ab, v172
	v_add_f32_e32 v159, v159, v176
	v_sub_f32_e32 v153, v239, v153
	;; [unrolled: 3-line block ×3, first 2 shown]
	v_add_f32_e32 v153, v159, v153
	v_sub_f32_e32 v159, v249, v202
	v_add_f32_e32 v177, v159, v153
	v_mul_f32_e32 v153, 0xbe8c1d8e, v133
	v_add_f32_e32 v153, v153, v169
	v_mul_f32_e32 v159, 0xbf59a7d5, v135
	v_add_f32_e32 v153, v68, v153
	v_add_f32_e32 v159, v159, v183
	;; [unrolled: 1-line block ×3, first 2 shown]
	v_fma_f32 v251, v155, s10, -v156
	buffer_store_dword v157, off, s[20:23], 0 offset:100 ; 4-byte Folded Spill
	v_mul_f32_e32 v157, 0xbf763a35, v243
	v_add_f32_e32 v153, v159, v153
	v_mul_f32_e32 v159, 0x3f3d2fb0, v138
	v_add_f32_e32 v150, v251, v150
	v_fma_f32 v251, v165, s16, -v157
	buffer_store_dword v158, off, s[20:23], 0 offset:84 ; 4-byte Folded Spill
	v_mul_f32_e32 v158, 0x3f7ee86f, v248
	v_add_f32_e32 v159, v159, v196
	v_add_f32_e32 v150, v251, v150
	v_fma_f32 v251, v178, s11, -v158
	v_add_f32_e32 v153, v159, v153
	v_mul_f32_e32 v159, 0x3ee437d1, v143
	v_add_f32_e32 v251, v251, v150
	v_mul_f32_e32 v150, 0xbf7ba420, v147
	;; [unrolled: 2-line block ×3, first 2 shown]
	v_add_f32_e32 v153, v159, v153
	v_add_f32_e32 v150, v150, v219
	v_mul_f32_e32 v137, 0x3f6eb680, v165
	v_add_f32_e32 v150, v150, v153
	v_add_f32_e32 v152, v152, v233
	v_mul_f32_e32 v248, 0xbf1a4643, v178
	v_add_f32_e32 v150, v152, v150
	v_add_f32_e32 v137, v137, v241
	;; [unrolled: 1-line block ×5, first 2 shown]
	v_mul_f32_e32 v137, 0xbf7ee86f, v134
	v_sub_f32_e32 v137, v160, v137
	v_mul_f32_e32 v150, 0xbe3c28d5, v136
	v_add_f32_e32 v137, v69, v137
	v_sub_f32_e32 v150, v175, v150
	v_add_f32_e32 v137, v150, v137
	v_mul_f32_e32 v150, 0x3f763a35, v140
	v_sub_f32_e32 v150, v189, v150
	v_add_f32_e32 v137, v150, v137
	v_mul_f32_e32 v150, 0x3eb8f4ab, v146
	;; [unrolled: 3-line block ×3, first 2 shown]
	v_mul_f32_e32 v151, 0xbf06c442, v161
	v_sub_f32_e32 v150, v213, v150
	v_mul_f32_e32 v162, 0x3f4c4adb, v172
	v_add_f32_e32 v137, v150, v137
	v_sub_f32_e32 v150, v224, v151
	v_mul_f32_e32 v191, 0x3f2c7751, v184
	v_add_f32_e32 v137, v150, v137
	v_sub_f32_e32 v150, v237, v162
	v_add_f32_e32 v137, v150, v137
	v_sub_f32_e32 v150, v244, v191
	v_add_f32_e32 v183, v150, v137
	v_mul_f32_e32 v137, 0x3dbcf732, v133
	v_add_f32_e32 v137, v137, v163
	v_mul_f32_e32 v150, 0xbf7ba420, v135
	v_add_f32_e32 v137, v68, v137
	v_add_f32_e32 v150, v150, v170
	;; [unrolled: 1-line block ×3, first 2 shown]
	v_mul_f32_e32 v150, 0xbe8c1d8e, v138
	v_add_f32_e32 v150, v150, v182
	v_add_f32_e32 v137, v150, v137
	v_mul_f32_e32 v150, 0x3f6eb680, v143
	v_add_f32_e32 v253, v69, v253
	v_add_f32_e32 v150, v150, v195
	;; [unrolled: 1-line block ×4, first 2 shown]
	v_mul_f32_e32 v150, 0x3ee437d1, v147
	v_add_f32_e32 v139, v139, v253
	v_mul_f32_e32 v149, 0xbf59a7d5, v155
	v_add_f32_e32 v150, v150, v207
	v_add_f32_e32 v123, v123, v139
	v_mov_b32_e32 v139, v164
	v_mul_f32_e32 v164, 0xbf1a4643, v165
	v_add_f32_e32 v137, v150, v137
	v_add_f32_e32 v149, v149, v218
	v_fma_f32 v144, v247, s16, -v144
	v_mul_f32_e32 v247, 0x3f3d2fb0, v178
	v_add_f32_e32 v137, v149, v137
	v_add_f32_e32 v149, v164, v231
	;; [unrolled: 1-line block ×5, first 2 shown]
	buffer_load_dword v149, off, s[20:23], 0 offset:104 ; 4-byte Folded Reload
	v_mul_f32_e32 v137, 0xbf65296c, v134
	v_add_f32_e32 v123, v141, v123
	v_fma_f32 v142, v242, s10, -v142
	v_fmac_f32_e32 v156, 0x3ee437d1, v155
	v_add_f32_e32 v123, v142, v123
	v_add_f32_e32 v148, v156, v148
	v_fmac_f32_e32 v157, 0xbe8c1d8e, v165
	v_add_f32_e32 v123, v144, v123
	v_mul_f32_e32 v144, 0xbeb8f4ab, v161
	v_add_f32_e32 v148, v157, v148
	v_fmac_f32_e32 v158, 0x3dbcf732, v178
	v_add_f32_e32 v253, v158, v148
	v_mul_f32_e32 v158, 0xbf7ee86f, v172
	v_sub_f32_e32 v144, v211, v144
	v_mul_f32_e32 v243, 0xbf06c442, v184
	v_mul_f32_e32 v142, 0x3f6eb680, v155
	;; [unrolled: 1-line block ×3, first 2 shown]
	v_add_f32_e32 v142, v142, v206
	v_mul_f32_e32 v242, 0xbf59a7d5, v178
	v_mul_f32_e32 v141, 0x3f763a35, v161
	v_fma_f32 v145, v250, s11, -v145
	v_add_f32_e32 v254, v145, v123
	v_mul_f32_e32 v145, 0x3f65296c, v172
	v_sub_f32_e32 v141, v198, v141
	v_mul_f32_e32 v131, 0x3eb8f4ab, v184
	v_sub_f32_e32 v131, v220, v131
	v_mul_f32_e32 v123, 0x3ee437d1, v165
	v_mul_f32_e32 v229, 0x3f6eb680, v178
	v_add_f32_e32 v123, v123, v205
	v_mul_f32_e32 v157, 0xbf06c442, v172
	v_mul_f32_e32 v132, 0xbe3c28d5, v184
	;; [unrolled: 1-line block ×4, first 2 shown]
	v_add_f32_e32 v71, v71, v69
	v_add_f32_e32 v70, v70, v68
	;; [unrolled: 1-line block ×14, first 2 shown]
	v_fma_f32 v72, v133, s18, -v232
	v_add_f32_e32 v71, v85, v71
	v_add_f32_e32 v70, v84, v70
	;; [unrolled: 1-line block ×12, first 2 shown]
	v_fmac_f32_e32 v108, 0xbf4c4adb, v134
	v_add_f32_e32 v71, v105, v71
	v_add_f32_e32 v70, v104, v70
	v_fmac_f32_e32 v128, 0x3f763a35, v136
	v_add_f32_e32 v71, v107, v71
	v_add_f32_e32 v70, v106, v70
	;; [unrolled: 3-line block ×3, first 2 shown]
	v_fmac_f32_e32 v130, 0xbf06c442, v146
	v_fmac_f32_e32 v186, 0x3f7ee86f, v154
	;; [unrolled: 1-line block ×5, first 2 shown]
	s_waitcnt vmcnt(0)
	v_sub_f32_e32 v137, v149, v137
	v_mul_f32_e32 v149, 0xbf4c4adb, v136
	v_add_f32_e32 v137, v69, v137
	v_sub_f32_e32 v149, v166, v149
	v_add_f32_e32 v137, v149, v137
	v_mul_f32_e32 v149, 0x3e3c28d5, v140
	v_sub_f32_e32 v149, v174, v149
	v_add_f32_e32 v137, v149, v137
	v_mul_f32_e32 v149, 0x3f763a35, v146
	;; [unrolled: 3-line block ×3, first 2 shown]
	v_sub_f32_e32 v149, v199, v149
	v_add_f32_e32 v137, v149, v137
	v_add_f32_e32 v137, v144, v137
	v_sub_f32_e32 v144, v223, v158
	v_add_f32_e32 v137, v144, v137
	v_sub_f32_e32 v144, v236, v243
	v_add_f32_e32 v163, v144, v137
	buffer_load_dword v144, off, s[20:23], 0 offset:96 ; 4-byte Folded Reload
	buffer_load_dword v149, off, s[20:23], 0 offset:100 ; 4-byte Folded Reload
	v_mul_f32_e32 v137, 0x3ee437d1, v133
	s_waitcnt vmcnt(1)
	v_add_f32_e32 v137, v137, v144
	v_mul_f32_e32 v144, 0xbf1a4643, v135
	v_add_f32_e32 v137, v68, v137
	s_waitcnt vmcnt(0)
	v_add_f32_e32 v144, v144, v149
	v_add_f32_e32 v137, v144, v137
	v_mul_f32_e32 v144, 0xbf7ba420, v138
	v_add_f32_e32 v144, v144, v168
	v_add_f32_e32 v137, v144, v137
	v_mul_f32_e32 v144, 0xbe8c1d8e, v143
	;; [unrolled: 3-line block ×3, first 2 shown]
	v_add_f32_e32 v144, v144, v194
	v_add_f32_e32 v137, v144, v137
	;; [unrolled: 1-line block ×7, first 2 shown]
	buffer_load_dword v142, off, s[20:23], 0 offset:80 ; 4-byte Folded Reload
	buffer_load_dword v144, off, s[20:23], 0 offset:88 ; 4-byte Folded Reload
	v_mul_f32_e32 v137, 0xbf2c7751, v134
	s_waitcnt vmcnt(1)
	v_sub_f32_e32 v137, v142, v137
	v_mul_f32_e32 v142, 0xbf7ee86f, v136
	s_waitcnt vmcnt(0)
	v_sub_f32_e32 v142, v144, v142
	buffer_load_dword v144, off, s[20:23], 0 offset:92 ; 4-byte Folded Reload
	v_add_f32_e32 v137, v69, v137
	v_add_f32_e32 v137, v142, v137
	v_mul_f32_e32 v142, 0xbf4c4adb, v140
	s_waitcnt vmcnt(0)
	v_sub_f32_e32 v142, v144, v142
	v_add_f32_e32 v137, v142, v137
	v_mul_f32_e32 v142, 0xbe3c28d5, v146
	v_sub_f32_e32 v142, v173, v142
	v_add_f32_e32 v137, v142, v137
	v_mul_f32_e32 v142, 0x3f06c442, v154
	v_sub_f32_e32 v142, v187, v142
	v_add_f32_e32 v137, v142, v137
	v_add_f32_e32 v137, v141, v137
	v_sub_f32_e32 v141, v210, v145
	v_add_f32_e32 v137, v141, v137
	v_add_f32_e32 v152, v131, v137
	buffer_load_dword v137, off, s[20:23], 0 offset:64 ; 4-byte Folded Reload
	buffer_load_dword v141, off, s[20:23], 0 offset:72 ; 4-byte Folded Reload
	v_mul_f32_e32 v131, 0x3f3d2fb0, v133
	s_waitcnt vmcnt(1)
	v_add_f32_e32 v131, v131, v137
	v_mul_f32_e32 v137, 0x3dbcf732, v135
	s_waitcnt vmcnt(0)
	v_add_f32_e32 v137, v137, v141
	buffer_load_dword v141, off, s[20:23], 0 offset:84 ; 4-byte Folded Reload
	v_add_f32_e32 v131, v68, v131
	v_add_f32_e32 v131, v137, v131
	v_mul_f32_e32 v137, 0xbf1a4643, v138
	s_waitcnt vmcnt(0)
	v_add_f32_e32 v137, v137, v141
	v_add_f32_e32 v131, v137, v131
	v_mul_f32_e32 v137, 0xbf7ba420, v143
	v_add_f32_e32 v137, v137, v167
	v_add_f32_e32 v131, v137, v131
	v_mul_f32_e32 v137, 0xbf59a7d5, v147
	;; [unrolled: 3-line block ×3, first 2 shown]
	v_add_f32_e32 v137, v137, v193
	v_add_f32_e32 v131, v137, v131
	;; [unrolled: 1-line block ×5, first 2 shown]
	buffer_load_dword v131, off, s[20:23], 0 offset:44 ; 4-byte Folded Reload
	buffer_load_dword v137, off, s[20:23], 0 offset:56 ; 4-byte Folded Reload
	v_mul_f32_e32 v123, 0xbeb8f4ab, v134
	s_waitcnt vmcnt(1)
	v_sub_f32_e32 v123, v131, v123
	v_mul_f32_e32 v131, 0xbf2c7751, v136
	s_waitcnt vmcnt(0)
	v_sub_f32_e32 v131, v137, v131
	buffer_load_dword v137, off, s[20:23], 0 offset:68 ; 4-byte Folded Reload
	v_add_f32_e32 v123, v69, v123
	v_add_f32_e32 v123, v131, v123
	v_mul_f32_e32 v131, 0xbf65296c, v140
	v_add_f32_e32 v69, v69, v108
	v_add_f32_e32 v69, v128, v69
	;; [unrolled: 1-line block ×8, first 2 shown]
	s_waitcnt vmcnt(0)
	v_sub_f32_e32 v131, v137, v131
	buffer_load_dword v137, off, s[20:23], 0 offset:76 ; 4-byte Folded Reload
	v_add_f32_e32 v123, v131, v123
	v_mul_f32_e32 v131, 0xbf7ee86f, v146
	s_waitcnt vmcnt(0)
	v_sub_f32_e32 v131, v137, v131
	v_add_f32_e32 v123, v131, v123
	v_mul_f32_e32 v131, 0xbf763a35, v154
	v_sub_f32_e32 v131, v171, v131
	v_add_f32_e32 v123, v131, v123
	v_mul_f32_e32 v131, 0xbf4c4adb, v161
	v_sub_f32_e32 v131, v185, v131
	v_add_f32_e32 v123, v131, v123
	v_sub_f32_e32 v131, v197, v157
	v_add_f32_e32 v123, v131, v123
	;; [unrolled: 2-line block ×3, first 2 shown]
	buffer_load_dword v131, off, s[20:23], 0 offset:40 ; 4-byte Folded Reload
	buffer_load_dword v137, off, s[20:23], 0 offset:48 ; 4-byte Folded Reload
	v_mul_f32_e32 v123, 0x3f6eb680, v133
	buffer_load_dword v132, off, s[20:23], 0 offset:28 ; 4-byte Folded Reload
	s_waitcnt vmcnt(2)
	v_add_f32_e32 v123, v123, v131
	v_mul_f32_e32 v131, 0x3f3d2fb0, v135
	s_waitcnt vmcnt(1)
	v_add_f32_e32 v131, v131, v137
	buffer_load_dword v137, off, s[20:23], 0 offset:52 ; 4-byte Folded Reload
	v_add_f32_e32 v123, v68, v123
	v_add_f32_e32 v123, v131, v123
	v_mul_f32_e32 v131, 0x3ee437d1, v138
	v_add_f32_e32 v68, v68, v72
	v_fma_f32 v72, v135, s16, -v190
	v_add_f32_e32 v68, v72, v68
	v_fma_f32 v72, v138, s8, -v203
	;; [unrolled: 2-line block ×7, first 2 shown]
	v_add_f32_e32 v68, v72, v68
	s_waitcnt vmcnt(0)
	v_add_f32_e32 v131, v131, v137
	buffer_load_dword v137, off, s[20:23], 0 offset:60 ; 4-byte Folded Reload
	v_add_f32_e32 v123, v131, v123
	v_mul_f32_e32 v131, 0x3dbcf732, v143
	s_waitcnt vmcnt(0)
	v_add_f32_e32 v131, v131, v137
	v_add_f32_e32 v123, v131, v123
	v_mul_f32_e32 v131, 0xbe8c1d8e, v147
	v_add_f32_e32 v131, v131, v139
	v_add_f32_e32 v123, v131, v123
	v_mul_f32_e32 v131, 0xbf1a4643, v155
	v_add_f32_e32 v131, v131, v179
	v_add_f32_e32 v123, v131, v123
	;; [unrolled: 1-line block ×5, first 2 shown]
	buffer_load_dword v221, off, s[20:23], 0 offset:32 ; 4-byte Folded Reload
	v_add_f32_e32 v144, v131, v123
	buffer_load_dword v131, off, s[20:23], 0 offset:24 ; 4-byte Folded Reload
	buffer_load_dword v123, off, s[20:23], 0 ; 4-byte Folded Reload
	buffer_load_dword v128, off, s[20:23], 0 offset:12 ; 4-byte Folded Reload
	buffer_load_dword v129, off, s[20:23], 0 offset:16 ; 4-byte Folded Reload
	;; [unrolled: 1-line block ×3, first 2 shown]
	s_waitcnt vmcnt(3)
	v_mul_lo_u16_e32 v72, 17, v123
	v_lshlrev_b32_e32 v72, 3, v72
	ds_write2_b64 v72, v[70:71], v[144:145] offset1:1
	ds_write2_b64 v72, v[151:152], v[162:163] offset0:2 offset1:3
	ds_write2_b64 v72, v[182:183], v[176:177] offset0:4 offset1:5
	;; [unrolled: 1-line block ×3, first 2 shown]
	buffer_load_dword v227, off, s[20:23], 0 offset:4 ; 4-byte Folded Reload
	buffer_load_dword v228, off, s[20:23], 0 offset:8 ; 4-byte Folded Reload
	;; [unrolled: 1-line block ×3, first 2 shown]
	ds_write2_b64 v72, v[253:254], v[251:252] offset0:8 offset1:9
	ds_write2_b64 v72, v[121:122], v[68:69] offset0:10 offset1:11
	ds_write2_b64 v72, v[92:93], v[94:95] offset0:12 offset1:13
	ds_write2_b64 v72, v[88:89], v[90:91] offset0:14 offset1:15
	ds_write_b64 v72, v[60:61] offset:128
.LBB0_17:
	s_or_b64 exec, exec, s[2:3]
	v_add_u32_e32 v85, 0x800, v125
	s_waitcnt vmcnt(0) lgkmcnt(0)
	s_barrier
	ds_read2_b64 v[73:76], v85 offset0:84 offset1:254
	v_add_u32_e32 v68, 0x1e00, v125
	v_add_u32_e32 v87, 0x1400, v125
	ds_read2_b64 v[77:80], v68 offset0:60 offset1:230
	ds_read2_b64 v[96:99], v87 offset0:40 offset1:210
	v_add_u32_e32 v86, 0x2800, v125
	v_add_u32_e32 v104, 0x3400, v125
	ds_read2_b64 v[81:84], v86 offset0:80 offset1:250
	ds_read2_b64 v[100:103], v104 offset0:36 offset1:206
	ds_read2_b64 v[69:72], v125 offset1:170
	s_waitcnt lgkmcnt(5)
	v_mul_f32_e32 v105, v25, v76
	v_mul_f32_e32 v25, v25, v75
	v_fmac_f32_e32 v105, v24, v75
	v_fma_f32 v24, v24, v76, -v25
	s_waitcnt lgkmcnt(4)
	v_mul_f32_e32 v25, v27, v78
	v_mul_f32_e32 v27, v27, v77
	s_waitcnt lgkmcnt(3)
	v_mul_f32_e32 v76, v17, v97
	v_mul_f32_e32 v17, v17, v96
	v_fmac_f32_e32 v25, v26, v77
	v_fma_f32 v26, v26, v78, -v27
	v_fmac_f32_e32 v76, v16, v96
	v_fma_f32 v77, v16, v97, -v17
	v_mul_f32_e32 v78, v19, v80
	v_mul_f32_e32 v16, v19, v79
	s_waitcnt lgkmcnt(2)
	v_mul_f32_e32 v27, v116, v84
	v_fmac_f32_e32 v78, v18, v79
	v_fma_f32 v79, v18, v80, -v16
	s_waitcnt lgkmcnt(1)
	v_mul_f32_e32 v16, v112, v100
	v_fmac_f32_e32 v27, v115, v83
	v_mul_f32_e32 v75, v116, v83
	v_mul_f32_e32 v80, v112, v101
	v_fma_f32 v83, v111, v101, -v16
	v_mul_f32_e32 v16, v21, v98
	v_fma_f32 v75, v115, v84, -v75
	v_fmac_f32_e32 v80, v111, v100
	v_mul_f32_e32 v84, v21, v99
	v_fma_f32 v96, v20, v99, -v16
	v_mul_f32_e32 v97, v23, v82
	v_mul_f32_e32 v16, v23, v81
	s_waitcnt lgkmcnt(0)
	v_sub_f32_e32 v23, v70, v26
	v_fmac_f32_e32 v84, v20, v98
	v_fmac_f32_e32 v97, v22, v81
	v_fma_f32 v81, v22, v82, -v16
	v_mul_f32_e32 v82, v114, v103
	v_mul_f32_e32 v16, v114, v102
	v_sub_f32_e32 v22, v69, v25
	v_fma_f32 v19, v70, 2.0, -v23
	v_sub_f32_e32 v20, v24, v75
	v_sub_f32_e32 v75, v71, v78
	;; [unrolled: 1-line block ×4, first 2 shown]
	v_fmac_f32_e32 v82, v113, v102
	v_fma_f32 v98, v113, v103, -v16
	v_fma_f32 v18, v69, 2.0, -v22
	v_fma_f32 v17, v24, 2.0, -v20
	v_sub_f32_e32 v69, v77, v83
	v_fma_f32 v24, v76, 2.0, -v70
	v_sub_f32_e32 v70, v78, v70
	v_sub_f32_e32 v21, v105, v27
	v_fma_f32 v27, v72, 2.0, -v78
	v_fma_f32 v25, v77, 2.0, -v69
	v_add_f32_e32 v69, v75, v69
	v_fma_f32 v72, v78, 2.0, -v70
	v_sub_f32_e32 v79, v73, v97
	v_sub_f32_e32 v80, v74, v81
	;; [unrolled: 1-line block ×4, first 2 shown]
	v_fma_f32 v16, v105, 2.0, -v21
	v_fma_f32 v26, v71, 2.0, -v75
	;; [unrolled: 1-line block ×7, first 2 shown]
	v_sub_f32_e32 v16, v18, v16
	v_sub_f32_e32 v17, v19, v17
	v_add_f32_e32 v20, v22, v20
	v_sub_f32_e32 v21, v23, v21
	v_sub_f32_e32 v24, v26, v24
	;; [unrolled: 1-line block ×5, first 2 shown]
	v_add_f32_e32 v77, v79, v77
	v_sub_f32_e32 v78, v80, v78
	v_fma_f32 v18, v18, 2.0, -v16
	v_fma_f32 v19, v19, 2.0, -v17
	;; [unrolled: 1-line block ×10, first 2 shown]
	s_barrier
	ds_write2_b64 v128, v[18:19], v[22:23] offset1:17
	ds_write2_b64 v128, v[16:17], v[20:21] offset0:34 offset1:51
	ds_write2_b64 v129, v[26:27], v[71:72] offset1:17
	ds_write2_b64 v129, v[24:25], v[69:70] offset0:34 offset1:51
	;; [unrolled: 2-line block ×3, first 2 shown]
	s_waitcnt lgkmcnt(0)
	s_barrier
	ds_read2_b64 v[20:23], v125 offset1:170
	ds_read2_b64 v[24:27], v87 offset0:40 offset1:210
	ds_read2_b64 v[69:72], v86 offset0:80 offset1:250
	;; [unrolled: 1-line block ×5, first 2 shown]
	s_waitcnt lgkmcnt(4)
	v_mul_f32_e32 v81, v29, v25
	v_fmac_f32_e32 v81, v28, v24
	v_mul_f32_e32 v24, v29, v24
	v_fma_f32 v28, v28, v25, -v24
	s_waitcnt lgkmcnt(3)
	v_mul_f32_e32 v29, v31, v70
	v_mul_f32_e32 v24, v31, v69
	v_fmac_f32_e32 v29, v30, v69
	v_fma_f32 v30, v30, v70, -v24
	v_mul_f32_e32 v31, v33, v27
	v_mul_f32_e32 v24, v33, v26
	v_fmac_f32_e32 v31, v32, v26
	v_fma_f32 v32, v32, v27, -v24
	;; [unrolled: 4-line block ×3, first 2 shown]
	s_waitcnt lgkmcnt(1)
	v_mul_f32_e32 v24, v37, v73
	v_mul_f32_e32 v69, v37, v74
	v_fma_f32 v35, v36, v74, -v24
	s_waitcnt lgkmcnt(0)
	v_mul_f32_e32 v37, v39, v78
	v_mul_f32_e32 v24, v39, v77
	v_fmac_f32_e32 v37, v38, v77
	v_fma_f32 v38, v38, v78, -v24
	v_mul_f32_e32 v70, v41, v76
	v_mul_f32_e32 v24, v41, v75
	v_fmac_f32_e32 v70, v40, v75
	v_fma_f32 v40, v40, v76, -v24
	v_mul_f32_e32 v41, v43, v80
	v_mul_f32_e32 v24, v43, v79
	v_add_f32_e32 v25, v81, v29
	v_fmac_f32_e32 v41, v42, v79
	v_fma_f32 v42, v42, v80, -v24
	v_add_f32_e32 v24, v20, v81
	v_fma_f32 v20, -0.5, v25, v20
	v_sub_f32_e32 v25, v28, v30
	v_mov_b32_e32 v26, v20
	v_add_f32_e32 v27, v28, v30
	v_fmac_f32_e32 v26, 0xbf5db3d7, v25
	v_fmac_f32_e32 v20, 0x3f5db3d7, v25
	v_add_f32_e32 v25, v21, v28
	v_fma_f32 v21, -0.5, v27, v21
	v_add_f32_e32 v24, v24, v29
	v_sub_f32_e32 v28, v81, v29
	v_mov_b32_e32 v27, v21
	v_add_f32_e32 v29, v31, v33
	v_fmac_f32_e32 v27, 0x3f5db3d7, v28
	v_fmac_f32_e32 v21, 0xbf5db3d7, v28
	v_add_f32_e32 v28, v22, v31
	v_fma_f32 v22, -0.5, v29, v22
	v_add_f32_e32 v25, v25, v30
	v_sub_f32_e32 v29, v32, v34
	v_mov_b32_e32 v30, v22
	v_fmac_f32_e32 v69, v36, v73
	v_fmac_f32_e32 v30, 0xbf5db3d7, v29
	;; [unrolled: 1-line block ×3, first 2 shown]
	v_add_f32_e32 v29, v23, v32
	v_add_f32_e32 v32, v32, v34
	;; [unrolled: 1-line block ×3, first 2 shown]
	v_fmac_f32_e32 v23, -0.5, v32
	v_sub_f32_e32 v32, v31, v33
	v_add_f32_e32 v33, v69, v37
	v_add_f32_e32 v29, v29, v34
	v_mov_b32_e32 v31, v23
	v_fma_f32 v34, -0.5, v33, v16
	v_fmac_f32_e32 v31, 0x3f5db3d7, v32
	v_fmac_f32_e32 v23, 0xbf5db3d7, v32
	v_add_f32_e32 v32, v16, v69
	v_sub_f32_e32 v16, v35, v38
	v_mov_b32_e32 v36, v34
	v_fmac_f32_e32 v36, 0xbf5db3d7, v16
	v_fmac_f32_e32 v34, 0x3f5db3d7, v16
	v_add_f32_e32 v16, v17, v35
	v_add_f32_e32 v33, v16, v38
	v_add_f32_e32 v16, v35, v38
	v_fma_f32 v35, -0.5, v16, v17
	v_add_f32_e32 v32, v32, v37
	v_sub_f32_e32 v16, v69, v37
	v_mov_b32_e32 v37, v35
	v_fmac_f32_e32 v37, 0x3f5db3d7, v16
	v_fmac_f32_e32 v35, 0xbf5db3d7, v16
	v_add_f32_e32 v16, v18, v70
	v_add_f32_e32 v38, v16, v41
	;; [unrolled: 1-line block ×3, first 2 shown]
	v_fma_f32 v18, -0.5, v16, v18
	v_sub_f32_e32 v17, v40, v42
	v_mov_b32_e32 v16, v18
	v_fmac_f32_e32 v16, 0xbf5db3d7, v17
	v_fmac_f32_e32 v18, 0x3f5db3d7, v17
	v_add_f32_e32 v17, v19, v40
	v_add_f32_e32 v39, v17, v42
	;; [unrolled: 1-line block ×3, first 2 shown]
	v_fmac_f32_e32 v19, -0.5, v17
	v_sub_f32_e32 v40, v70, v41
	v_mov_b32_e32 v17, v19
	v_fmac_f32_e32 v17, 0x3f5db3d7, v40
	v_fmac_f32_e32 v19, 0xbf5db3d7, v40
	v_add_u32_e32 v43, 0xc00, v125
	v_add_u32_e32 v42, 0x1800, v125
	;; [unrolled: 1-line block ×4, first 2 shown]
	s_barrier
	ds_write2_b64 v131, v[24:25], v[26:27] offset1:68
	ds_write_b64 v131, v[20:21] offset:1088
	ds_write2_b64 v132, v[28:29], v[30:31] offset1:68
	ds_write_b64 v132, v[22:23] offset:1088
	;; [unrolled: 2-line block ×4, first 2 shown]
	s_waitcnt lgkmcnt(0)
	s_barrier
	ds_read2_b64 v[20:23], v125 offset1:204
	ds_read2_b64 v[36:39], v43 offset0:24 offset1:228
	ds_read2_b64 v[32:35], v42 offset0:48 offset1:252
	;; [unrolled: 1-line block ×4, first 2 shown]
	s_and_saveexec_b64 s[2:3], vcc
	s_cbranch_execz .LBB0_19
; %bb.18:
	v_add_u32_e32 v16, 0x400, v125
	v_add_u32_e32 v60, 0x1200, v125
	ds_read2_b64 v[16:19], v16 offset0:42 offset1:246
	ds_read2_b64 v[92:95], v60 offset0:2 offset1:206
	;; [unrolled: 1-line block ×3, first 2 shown]
	v_add_u32_e32 v60, 0x2a00, v125
	v_add_u32_e32 v64, 0x3800, v125
	ds_read2_b64 v[60:63], v60 offset0:50 offset1:254
	ds_read2_b64 v[64:67], v64 offset0:10 offset1:214
.LBB0_19:
	s_or_b64 exec, exec, s[2:3]
	s_waitcnt lgkmcnt(4)
	v_mul_f32_e32 v68, v57, v23
	v_fmac_f32_e32 v68, v56, v22
	v_mul_f32_e32 v22, v57, v22
	v_fma_f32 v56, v56, v23, -v22
	s_waitcnt lgkmcnt(3)
	v_mul_f32_e32 v22, v59, v37
	v_fmac_f32_e32 v22, v58, v36
	v_mul_f32_e32 v23, v59, v36
	v_mul_f32_e32 v36, v53, v39
	v_fma_f32 v23, v58, v37, -v23
	v_fmac_f32_e32 v36, v52, v38
	v_mul_f32_e32 v37, v53, v38
	s_waitcnt lgkmcnt(2)
	v_mul_f32_e32 v38, v55, v33
	v_fmac_f32_e32 v38, v54, v32
	v_mul_f32_e32 v32, v55, v32
	v_fma_f32 v32, v54, v33, -v32
	v_mul_f32_e32 v33, v49, v35
	v_fmac_f32_e32 v33, v48, v34
	v_mul_f32_e32 v34, v49, v34
	v_fma_f32 v34, v48, v35, -v34
	s_waitcnt lgkmcnt(1)
	v_mul_f32_e32 v35, v51, v29
	v_fmac_f32_e32 v35, v50, v28
	v_mul_f32_e32 v28, v51, v28
	v_fma_f32 v28, v50, v29, -v28
	v_mul_f32_e32 v29, v45, v31
	v_fmac_f32_e32 v29, v44, v30
	v_mul_f32_e32 v30, v45, v30
	v_fma_f32 v30, v44, v31, -v30
	;; [unrolled: 9-line block ×3, first 2 shown]
	v_add_f32_e32 v27, v20, v22
	v_add_f32_e32 v27, v27, v38
	;; [unrolled: 1-line block ×3, first 2 shown]
	v_fma_f32 v37, v52, v39, -v37
	v_add_f32_e32 v39, v27, v31
	v_add_f32_e32 v27, v38, v35
	v_fma_f32 v44, -0.5, v27, v20
	v_sub_f32_e32 v27, v23, v24
	v_mov_b32_e32 v45, v44
	v_fmac_f32_e32 v45, 0xbf737871, v27
	v_sub_f32_e32 v46, v32, v28
	v_sub_f32_e32 v47, v22, v38
	;; [unrolled: 1-line block ×3, first 2 shown]
	v_fmac_f32_e32 v44, 0x3f737871, v27
	v_fmac_f32_e32 v45, 0xbf167918, v46
	v_add_f32_e32 v47, v47, v48
	v_fmac_f32_e32 v44, 0x3f167918, v46
	v_fmac_f32_e32 v45, 0x3e9e377a, v47
	;; [unrolled: 1-line block ×3, first 2 shown]
	v_add_f32_e32 v47, v22, v31
	v_fma_f32 v47, -0.5, v47, v20
	v_mov_b32_e32 v48, v47
	v_fmac_f32_e32 v48, 0x3f737871, v46
	v_sub_f32_e32 v20, v38, v22
	v_sub_f32_e32 v49, v35, v31
	v_fmac_f32_e32 v47, 0xbf737871, v46
	v_fmac_f32_e32 v48, 0xbf167918, v27
	v_add_f32_e32 v20, v20, v49
	v_fmac_f32_e32 v47, 0x3f167918, v27
	v_fmac_f32_e32 v48, 0x3e9e377a, v20
	;; [unrolled: 1-line block ×3, first 2 shown]
	v_add_f32_e32 v20, v21, v23
	v_add_f32_e32 v20, v20, v32
	;; [unrolled: 1-line block ×5, first 2 shown]
	v_fma_f32 v49, -0.5, v20, v21
	v_sub_f32_e32 v20, v22, v31
	v_mov_b32_e32 v50, v49
	v_fmac_f32_e32 v50, 0x3f737871, v20
	v_sub_f32_e32 v22, v38, v35
	v_sub_f32_e32 v27, v23, v32
	;; [unrolled: 1-line block ×3, first 2 shown]
	v_fmac_f32_e32 v49, 0xbf737871, v20
	v_fmac_f32_e32 v50, 0x3f167918, v22
	v_add_f32_e32 v27, v27, v31
	v_fmac_f32_e32 v49, 0xbf167918, v22
	v_fmac_f32_e32 v50, 0x3e9e377a, v27
	;; [unrolled: 1-line block ×3, first 2 shown]
	v_add_f32_e32 v27, v23, v24
	v_fma_f32 v51, -0.5, v27, v21
	v_mov_b32_e32 v35, v51
	v_fmac_f32_e32 v35, 0xbf737871, v22
	v_fmac_f32_e32 v51, 0x3f737871, v22
	;; [unrolled: 1-line block ×4, first 2 shown]
	v_add_f32_e32 v20, v68, v36
	v_add_f32_e32 v20, v20, v33
	;; [unrolled: 1-line block ×5, first 2 shown]
	v_sub_f32_e32 v21, v32, v23
	v_sub_f32_e32 v23, v28, v24
	v_fma_f32 v32, -0.5, v20, v68
	v_add_f32_e32 v21, v21, v23
	v_sub_f32_e32 v20, v37, v26
	v_mov_b32_e32 v23, v32
	v_fmac_f32_e32 v35, 0x3e9e377a, v21
	v_fmac_f32_e32 v51, 0x3e9e377a, v21
	;; [unrolled: 1-line block ×3, first 2 shown]
	v_sub_f32_e32 v21, v34, v30
	v_sub_f32_e32 v22, v36, v33
	;; [unrolled: 1-line block ×3, first 2 shown]
	v_fmac_f32_e32 v32, 0x3f737871, v20
	v_fmac_f32_e32 v23, 0xbf167918, v21
	v_add_f32_e32 v22, v22, v24
	v_fmac_f32_e32 v32, 0x3f167918, v21
	v_fmac_f32_e32 v23, 0x3e9e377a, v22
	v_fmac_f32_e32 v32, 0x3e9e377a, v22
	v_add_f32_e32 v22, v36, v25
	v_fmac_f32_e32 v68, -0.5, v22
	v_mov_b32_e32 v27, v68
	v_fmac_f32_e32 v27, 0x3f737871, v21
	v_fmac_f32_e32 v68, 0xbf737871, v21
	v_fmac_f32_e32 v27, 0xbf167918, v20
	v_fmac_f32_e32 v68, 0x3f167918, v20
	v_add_f32_e32 v20, v56, v37
	v_add_f32_e32 v20, v20, v34
	;; [unrolled: 1-line block ×5, first 2 shown]
	v_sub_f32_e32 v22, v33, v36
	v_sub_f32_e32 v24, v29, v25
	v_fma_f32 v38, -0.5, v20, v56
	v_add_f32_e32 v22, v22, v24
	v_sub_f32_e32 v20, v36, v25
	v_mov_b32_e32 v25, v38
	v_fmac_f32_e32 v27, 0x3e9e377a, v22
	v_fmac_f32_e32 v68, 0x3e9e377a, v22
	;; [unrolled: 1-line block ×3, first 2 shown]
	v_sub_f32_e32 v21, v33, v29
	v_sub_f32_e32 v22, v37, v34
	;; [unrolled: 1-line block ×3, first 2 shown]
	v_fmac_f32_e32 v38, 0xbf737871, v20
	v_fmac_f32_e32 v25, 0x3f167918, v21
	v_add_f32_e32 v22, v22, v24
	v_fmac_f32_e32 v38, 0xbf167918, v21
	v_fmac_f32_e32 v25, 0x3e9e377a, v22
	;; [unrolled: 1-line block ×3, first 2 shown]
	v_add_f32_e32 v22, v37, v26
	v_fmac_f32_e32 v56, -0.5, v22
	v_mov_b32_e32 v29, v56
	v_fmac_f32_e32 v29, 0xbf737871, v21
	v_sub_f32_e32 v22, v34, v37
	v_sub_f32_e32 v24, v30, v26
	v_fmac_f32_e32 v56, 0x3f737871, v21
	v_fmac_f32_e32 v29, 0x3f167918, v20
	v_add_f32_e32 v22, v22, v24
	v_fmac_f32_e32 v56, 0xbf167918, v20
	v_fmac_f32_e32 v29, 0x3e9e377a, v22
	;; [unrolled: 1-line block ×3, first 2 shown]
	v_mul_f32_e32 v33, 0xbf167918, v25
	v_mul_f32_e32 v53, 0x3f4f1bbd, v25
	v_fmac_f32_e32 v33, 0x3f4f1bbd, v23
	v_mul_f32_e32 v34, 0xbf737871, v29
	v_mul_f32_e32 v36, 0xbf737871, v56
	;; [unrolled: 1-line block ×3, first 2 shown]
	v_fmac_f32_e32 v53, 0x3f167918, v23
	v_mul_f32_e32 v54, 0x3e9e377a, v29
	v_mul_f32_e32 v55, 0xbe9e377a, v56
	;; [unrolled: 1-line block ×3, first 2 shown]
	v_add_f32_e32 v20, v39, v31
	v_add_f32_e32 v22, v45, v33
	v_fmac_f32_e32 v34, 0x3e9e377a, v27
	v_fmac_f32_e32 v36, 0xbe9e377a, v68
	;; [unrolled: 1-line block ×3, first 2 shown]
	v_add_f32_e32 v21, v46, v52
	v_add_f32_e32 v23, v50, v53
	v_fmac_f32_e32 v54, 0x3f737871, v27
	v_fmac_f32_e32 v55, 0x3f737871, v68
	;; [unrolled: 1-line block ×3, first 2 shown]
	v_add_f32_e32 v24, v48, v34
	v_add_f32_e32 v26, v47, v36
	;; [unrolled: 1-line block ×6, first 2 shown]
	v_sub_f32_e32 v30, v39, v31
	v_sub_f32_e32 v32, v45, v33
	;; [unrolled: 1-line block ×10, first 2 shown]
	ds_write2_b64 v125, v[20:21], v[22:23] offset1:204
	ds_write2_b64 v43, v[24:25], v[26:27] offset0:24 offset1:228
	ds_write2_b64 v42, v[28:29], v[30:31] offset0:48 offset1:252
	;; [unrolled: 1-line block ×4, first 2 shown]
	s_and_saveexec_b64 s[2:3], vcc
	s_cbranch_execz .LBB0_21
; %bb.20:
	v_mul_f32_e32 v27, v13, v95
	v_mul_f32_e32 v28, v5, v91
	;; [unrolled: 1-line block ×6, first 2 shown]
	v_fmac_f32_e32 v27, v12, v94
	v_fmac_f32_e32 v28, v4, v90
	;; [unrolled: 1-line block ×4, first 2 shown]
	v_mul_f32_e32 v20, v3, v92
	v_fma_f32 v21, v14, v89, -v21
	v_mul_f32_e32 v24, v7, v60
	v_mul_f32_e32 v26, v3, v93
	v_fmac_f32_e32 v15, v14, v88
	v_mul_f32_e32 v14, v7, v61
	v_sub_f32_e32 v3, v27, v28
	v_sub_f32_e32 v7, v29, v30
	v_mul_f32_e32 v31, v1, v19
	v_add_f32_e32 v7, v3, v7
	v_fmac_f32_e32 v31, v0, v18
	v_add_f32_e32 v3, v28, v30
	v_fma_f32 v32, -0.5, v3, v31
	v_mul_f32_e32 v3, v13, v94
	v_fma_f32 v12, v12, v95, -v3
	v_mul_f32_e32 v3, v110, v66
	v_fma_f32 v13, v109, v67, -v3
	;; [unrolled: 2-line block ×3, first 2 shown]
	v_mul_f32_e32 v3, v9, v62
	v_mul_f32_e32 v23, v11, v64
	v_fma_f32 v8, v8, v63, -v3
	v_fma_f32 v20, v2, v93, -v20
	;; [unrolled: 1-line block ×4, first 2 shown]
	v_sub_f32_e32 v3, v12, v4
	v_sub_f32_e32 v5, v13, v8
	v_add_f32_e32 v35, v3, v5
	v_sub_f32_e32 v3, v21, v20
	v_sub_f32_e32 v5, v24, v23
	v_add_f32_e32 v5, v3, v5
	v_add_f32_e32 v3, v20, v23
	v_sub_f32_e32 v22, v20, v21
	v_sub_f32_e32 v25, v23, v24
	v_fma_f32 v39, -0.5, v3, v17
	v_sub_f32_e32 v3, v28, v27
	v_sub_f32_e32 v41, v30, v29
	v_add_f32_e32 v22, v22, v25
	v_add_f32_e32 v25, v21, v24
	v_mul_f32_e32 v11, v11, v65
	v_fmac_f32_e32 v14, v6, v60
	v_add_f32_e32 v41, v3, v41
	v_add_f32_e32 v3, v27, v29
	v_fma_f32 v25, -0.5, v25, v17
	v_fmac_f32_e32 v26, v2, v92
	v_fmac_f32_e32 v11, v10, v64
	v_sub_f32_e32 v6, v15, v14
	v_mul_f32_e32 v1, v1, v18
	v_mov_b32_e32 v40, v39
	v_fma_f32 v42, -0.5, v3, v31
	v_sub_f32_e32 v3, v4, v12
	v_sub_f32_e32 v44, v8, v13
	;; [unrolled: 1-line block ×3, first 2 shown]
	v_mov_b32_e32 v10, v25
	v_fma_f32 v0, v0, v19, -v1
	v_add_f32_e32 v1, v4, v8
	v_fmac_f32_e32 v40, 0x3f737871, v6
	v_add_f32_e32 v44, v3, v44
	v_add_f32_e32 v3, v12, v13
	v_fmac_f32_e32 v39, 0xbf737871, v6
	v_fmac_f32_e32 v10, 0xbf737871, v2
	v_fma_f32 v18, -0.5, v1, v0
	v_fmac_f32_e32 v40, 0xbf167918, v2
	v_fma_f32 v45, -0.5, v3, v0
	v_fmac_f32_e32 v39, 0x3f167918, v2
	v_fmac_f32_e32 v25, 0x3f737871, v2
	v_add_f32_e32 v2, v20, v17
	v_add_f32_e32 v0, v0, v12
	;; [unrolled: 1-line block ×4, first 2 shown]
	v_fmac_f32_e32 v10, 0xbf167918, v6
	v_fmac_f32_e32 v25, 0x3f167918, v6
	v_add_f32_e32 v2, v24, v2
	v_add_f32_e32 v0, v0, v8
	v_fmac_f32_e32 v10, 0x3e9e377a, v22
	v_sub_f32_e32 v33, v12, v13
	v_fmac_f32_e32 v25, 0x3e9e377a, v22
	v_add_f32_e32 v22, v23, v2
	v_add_f32_e32 v12, v0, v13
	v_sub_f32_e32 v0, v26, v15
	v_sub_f32_e32 v2, v11, v14
	;; [unrolled: 1-line block ×3, first 2 shown]
	v_add_f32_e32 v6, v0, v2
	v_sub_f32_e32 v2, v15, v26
	v_sub_f32_e32 v4, v14, v11
	v_mov_b32_e32 v43, v42
	v_add_f32_e32 v4, v2, v4
	v_add_f32_e32 v2, v26, v11
	v_mov_b32_e32 v34, v32
	v_fmac_f32_e32 v43, 0xbf737871, v9
	v_fmac_f32_e32 v42, 0x3f737871, v9
	v_add_f32_e32 v0, v15, v14
	v_sub_f32_e32 v8, v20, v23
	v_fma_f32 v23, -0.5, v2, v16
	v_fmac_f32_e32 v34, 0x3f737871, v33
	v_fmac_f32_e32 v43, 0x3f167918, v33
	;; [unrolled: 1-line block ×4, first 2 shown]
	v_fma_f32 v33, -0.5, v0, v16
	v_sub_f32_e32 v13, v21, v24
	v_mov_b32_e32 v24, v23
	v_mov_b32_e32 v20, v33
	v_fmac_f32_e32 v24, 0xbf737871, v13
	v_fmac_f32_e32 v23, 0x3f737871, v13
	;; [unrolled: 1-line block ×6, first 2 shown]
	v_add_f32_e32 v8, v26, v16
	v_sub_f32_e32 v19, v27, v29
	v_mov_b32_e32 v36, v18
	v_add_f32_e32 v8, v15, v8
	v_fmac_f32_e32 v36, 0xbf737871, v19
	v_sub_f32_e32 v37, v28, v30
	v_mov_b32_e32 v46, v45
	v_fmac_f32_e32 v18, 0x3f737871, v19
	v_add_f32_e32 v8, v14, v8
	v_fmac_f32_e32 v36, 0xbf167918, v37
	v_fmac_f32_e32 v46, 0x3f737871, v37
	;; [unrolled: 1-line block ×4, first 2 shown]
	v_add_f32_e32 v26, v11, v8
	v_add_f32_e32 v8, v31, v27
	v_fmac_f32_e32 v34, 0x3f167918, v9
	v_fmac_f32_e32 v36, 0x3e9e377a, v35
	v_fmac_f32_e32 v46, 0xbf167918, v19
	v_fmac_f32_e32 v45, 0x3f167918, v19
	v_fmac_f32_e32 v32, 0xbf167918, v9
	v_fmac_f32_e32 v18, 0x3e9e377a, v35
	v_add_f32_e32 v8, v8, v28
	v_fmac_f32_e32 v34, 0x3e9e377a, v7
	v_mul_f32_e32 v38, 0xbf4f1bbd, v36
	v_fmac_f32_e32 v46, 0x3e9e377a, v44
	v_fmac_f32_e32 v45, 0x3e9e377a, v44
	;; [unrolled: 1-line block ×3, first 2 shown]
	v_mul_f32_e32 v19, 0x3f4f1bbd, v18
	v_fmac_f32_e32 v20, 0x3f167918, v13
	v_mul_f32_e32 v21, 0xbf167918, v36
	v_fmac_f32_e32 v33, 0xbf167918, v13
	v_mul_f32_e32 v18, 0xbf167918, v18
	v_add_f32_e32 v8, v8, v30
	v_fmac_f32_e32 v38, 0x3f167918, v34
	v_fmac_f32_e32 v43, 0x3e9e377a, v41
	v_mul_f32_e32 v47, 0xbe9e377a, v46
	v_fmac_f32_e32 v42, 0x3e9e377a, v41
	v_mul_f32_e32 v41, 0x3e9e377a, v45
	v_fmac_f32_e32 v19, 0x3f167918, v32
	v_fmac_f32_e32 v20, 0x3e9e377a, v6
	;; [unrolled: 1-line block ×3, first 2 shown]
	v_mul_f32_e32 v34, 0xbf737871, v46
	v_mul_f32_e32 v35, 0xbf737871, v45
	v_fmac_f32_e32 v33, 0x3e9e377a, v6
	v_fmac_f32_e32 v18, 0x3f4f1bbd, v32
	v_add_f32_e32 v27, v8, v29
	v_sub_f32_e32 v1, v10, v38
	v_fmac_f32_e32 v40, 0x3e9e377a, v5
	v_fmac_f32_e32 v47, 0x3f737871, v43
	;; [unrolled: 1-line block ×4, first 2 shown]
	v_sub_f32_e32 v7, v25, v19
	v_sub_f32_e32 v0, v20, v21
	v_fmac_f32_e32 v24, 0x3e9e377a, v4
	v_fmac_f32_e32 v34, 0xbe9e377a, v43
	;; [unrolled: 1-line block ×4, first 2 shown]
	v_sub_f32_e32 v6, v33, v18
	v_add_f32_e32 v11, v10, v38
	v_add_f32_e32 v17, v25, v19
	;; [unrolled: 1-line block ×6, first 2 shown]
	v_add_u32_e32 v20, 0x400, v125
	v_sub_f32_e32 v9, v22, v12
	v_add_f32_e32 v13, v40, v47
	v_add_f32_e32 v15, v39, v41
	v_add_f32_e32 v12, v24, v34
	v_add_f32_e32 v14, v23, v35
	ds_write2_b64 v20, v[18:19], v[16:17] offset0:42 offset1:246
	v_add_u32_e32 v16, 0x1200, v125
	v_sub_f32_e32 v8, v26, v27
	ds_write2_b64 v16, v[14:15], v[12:13] offset0:2 offset1:206
	v_add_u32_e32 v12, 0x1e00, v125
	v_sub_f32_e32 v5, v39, v41
	v_sub_f32_e32 v4, v23, v35
	ds_write2_b64 v12, v[10:11], v[8:9] offset0:26 offset1:230
	v_add_u32_e32 v8, 0x2a00, v125
	v_sub_f32_e32 v3, v40, v47
	v_sub_f32_e32 v2, v24, v34
	ds_write2_b64 v8, v[6:7], v[4:5] offset0:50 offset1:254
	v_add_u32_e32 v4, 0x3800, v125
	ds_write2_b64 v4, v[2:3], v[0:1] offset0:10 offset1:214
.LBB0_21:
	s_or_b64 exec, exec, s[2:3]
	s_waitcnt lgkmcnt(0)
	s_barrier
	s_and_b64 exec, exec, s[0:1]
	s_cbranch_execz .LBB0_23
; %bb.22:
	global_load_dwordx2 v[0:1], v124, s[12:13]
	ds_read_b64 v[4:5], v125
	v_mad_u64_u32 v[2:3], s[0:1], s6, v227, 0
	v_mad_u64_u32 v[6:7], s[0:1], s4, v123, 0
	s_waitcnt lgkmcnt(0)
	v_mad_u64_u32 v[8:9], s[2:3], s7, v227, v[3:4]
	s_mov_b32 s0, 0x10101010
	s_mov_b32 s1, 0x3f401010
	v_mad_u64_u32 v[9:10], s[2:3], s5, v123, v[7:8]
	v_mov_b32_e32 v11, s15
	s_mul_i32 s3, s5, 0x3c0
	v_mov_b32_e32 v7, v9
	s_mul_hi_u32 s6, s4, 0x3c0
	s_mul_i32 s2, s4, 0x3c0
	s_add_i32 s3, s6, s3
	s_movk_i32 s6, 0x1000
	s_waitcnt vmcnt(0)
	v_mul_f32_e32 v3, v5, v1
	v_mul_f32_e32 v1, v4, v1
	v_fmac_f32_e32 v3, v4, v0
	v_fma_f32 v4, v0, v5, -v1
	v_cvt_f64_f32_e32 v[0:1], v3
	v_cvt_f64_f32_e32 v[4:5], v4
	v_mov_b32_e32 v3, v8
	v_mul_f64 v[8:9], v[0:1], s[0:1]
	v_mul_f64 v[4:5], v[4:5], s[0:1]
	v_lshlrev_b64 v[0:1], 3, v[2:3]
	v_lshlrev_b64 v[2:3], 3, v[6:7]
	v_add_co_u32_e32 v0, vcc, s14, v0
	v_addc_co_u32_e32 v1, vcc, v11, v1, vcc
	v_cvt_f32_f64_e32 v6, v[8:9]
	v_cvt_f32_f64_e32 v7, v[4:5]
	v_add_co_u32_e32 v8, vcc, v0, v2
	v_addc_co_u32_e32 v9, vcc, v1, v3, vcc
	global_store_dwordx2 v[8:9], v[6:7], off
	global_load_dwordx2 v[6:7], v124, s[12:13] offset:960
	ds_read2_b64 v[2:5], v124 offset0:120 offset1:240
	s_waitcnt vmcnt(0) lgkmcnt(0)
	v_mul_f32_e32 v10, v3, v7
	v_mul_f32_e32 v7, v2, v7
	v_fmac_f32_e32 v10, v2, v6
	v_fma_f32 v6, v6, v3, -v7
	v_cvt_f64_f32_e32 v[2:3], v10
	v_cvt_f64_f32_e32 v[6:7], v6
	v_mov_b32_e32 v10, s3
	v_mul_f64 v[2:3], v[2:3], s[0:1]
	v_mul_f64 v[6:7], v[6:7], s[0:1]
	v_cvt_f32_f64_e32 v2, v[2:3]
	v_cvt_f32_f64_e32 v3, v[6:7]
	v_add_co_u32_e32 v6, vcc, s2, v8
	v_addc_co_u32_e32 v7, vcc, v9, v10, vcc
	global_store_dwordx2 v[6:7], v[2:3], off
	global_load_dwordx2 v[2:3], v124, s[12:13] offset:1920
	v_add_co_u32_e32 v6, vcc, s2, v6
	s_waitcnt vmcnt(0)
	v_mul_f32_e32 v8, v5, v3
	v_mul_f32_e32 v3, v4, v3
	v_fmac_f32_e32 v8, v4, v2
	v_fma_f32 v4, v2, v5, -v3
	v_cvt_f64_f32_e32 v[2:3], v8
	v_cvt_f64_f32_e32 v[4:5], v4
	v_mov_b32_e32 v8, s3
	v_addc_co_u32_e32 v7, vcc, v7, v8, vcc
	v_mul_f64 v[2:3], v[2:3], s[0:1]
	v_mul_f64 v[4:5], v[4:5], s[0:1]
	v_cvt_f32_f64_e32 v2, v[2:3]
	v_cvt_f32_f64_e32 v3, v[4:5]
	global_store_dwordx2 v[6:7], v[2:3], off
	global_load_dwordx2 v[8:9], v124, s[12:13] offset:2880
	v_add_u32_e32 v2, 0x800, v124
	ds_read2_b64 v[2:5], v2 offset0:104 offset1:224
	v_add_co_u32_e32 v6, vcc, s2, v6
	s_waitcnt vmcnt(0) lgkmcnt(0)
	v_mul_f32_e32 v10, v3, v9
	v_mul_f32_e32 v9, v2, v9
	v_fmac_f32_e32 v10, v2, v8
	v_fma_f32 v8, v8, v3, -v9
	v_cvt_f64_f32_e32 v[2:3], v10
	v_cvt_f64_f32_e32 v[8:9], v8
	v_mov_b32_e32 v10, s3
	v_addc_co_u32_e32 v7, vcc, v7, v10, vcc
	v_mul_f64 v[2:3], v[2:3], s[0:1]
	v_mul_f64 v[8:9], v[8:9], s[0:1]
	v_add_co_u32_e32 v12, vcc, s12, v124
	v_cvt_f32_f64_e32 v2, v[2:3]
	v_cvt_f32_f64_e32 v3, v[8:9]
	global_store_dwordx2 v[6:7], v[2:3], off
	global_load_dwordx2 v[2:3], v124, s[12:13] offset:3840
	s_waitcnt vmcnt(0)
	v_mul_f32_e32 v8, v5, v3
	v_mul_f32_e32 v3, v4, v3
	v_fmac_f32_e32 v8, v4, v2
	v_fma_f32 v4, v2, v5, -v3
	v_cvt_f64_f32_e32 v[2:3], v8
	v_cvt_f64_f32_e32 v[4:5], v4
	v_mov_b32_e32 v8, s13
	v_addc_co_u32_e32 v13, vcc, 0, v8, vcc
	v_mul_f64 v[2:3], v[2:3], s[0:1]
	v_mul_f64 v[4:5], v[4:5], s[0:1]
	v_add_co_u32_e32 v8, vcc, s6, v12
	v_addc_co_u32_e32 v9, vcc, 0, v13, vcc
	v_add_co_u32_e32 v6, vcc, s2, v6
	v_cvt_f32_f64_e32 v2, v[2:3]
	v_cvt_f32_f64_e32 v3, v[4:5]
	v_addc_co_u32_e32 v7, vcc, v7, v10, vcc
	s_movk_i32 s6, 0x2000
	global_store_dwordx2 v[6:7], v[2:3], off
	global_load_dwordx2 v[10:11], v[8:9], off offset:704
	v_add_u32_e32 v2, 0x1000, v124
	ds_read2_b64 v[2:5], v2 offset0:88 offset1:208
	v_add_co_u32_e32 v6, vcc, s2, v6
	s_waitcnt vmcnt(0) lgkmcnt(0)
	v_mul_f32_e32 v14, v3, v11
	v_mul_f32_e32 v11, v2, v11
	v_fmac_f32_e32 v14, v2, v10
	v_fma_f32 v10, v10, v3, -v11
	v_cvt_f64_f32_e32 v[2:3], v14
	v_cvt_f64_f32_e32 v[10:11], v10
	v_mov_b32_e32 v14, s3
	v_addc_co_u32_e32 v7, vcc, v7, v14, vcc
	v_mul_f64 v[2:3], v[2:3], s[0:1]
	v_mul_f64 v[10:11], v[10:11], s[0:1]
	v_cvt_f32_f64_e32 v2, v[2:3]
	v_cvt_f32_f64_e32 v3, v[10:11]
	global_store_dwordx2 v[6:7], v[2:3], off
	global_load_dwordx2 v[2:3], v[8:9], off offset:1664
	v_add_co_u32_e32 v6, vcc, s2, v6
	s_waitcnt vmcnt(0)
	v_mul_f32_e32 v10, v5, v3
	v_mul_f32_e32 v3, v4, v3
	v_fmac_f32_e32 v10, v4, v2
	v_fma_f32 v4, v2, v5, -v3
	v_cvt_f64_f32_e32 v[2:3], v10
	v_cvt_f64_f32_e32 v[4:5], v4
	v_mov_b32_e32 v10, s3
	v_addc_co_u32_e32 v7, vcc, v7, v10, vcc
	v_mul_f64 v[2:3], v[2:3], s[0:1]
	v_mul_f64 v[4:5], v[4:5], s[0:1]
	v_cvt_f32_f64_e32 v2, v[2:3]
	v_cvt_f32_f64_e32 v3, v[4:5]
	global_store_dwordx2 v[6:7], v[2:3], off
	global_load_dwordx2 v[10:11], v[8:9], off offset:2624
	v_add_u32_e32 v2, 0x1800, v124
	ds_read2_b64 v[2:5], v2 offset0:72 offset1:192
	v_add_co_u32_e32 v6, vcc, s2, v6
	s_waitcnt vmcnt(0) lgkmcnt(0)
	v_mul_f32_e32 v14, v3, v11
	v_mul_f32_e32 v11, v2, v11
	v_fmac_f32_e32 v14, v2, v10
	v_fma_f32 v10, v10, v3, -v11
	v_cvt_f64_f32_e32 v[2:3], v14
	v_cvt_f64_f32_e32 v[10:11], v10
	v_mov_b32_e32 v14, s3
	v_addc_co_u32_e32 v7, vcc, v7, v14, vcc
	v_mul_f64 v[2:3], v[2:3], s[0:1]
	v_mul_f64 v[10:11], v[10:11], s[0:1]
	v_cvt_f32_f64_e32 v2, v[2:3]
	v_cvt_f32_f64_e32 v3, v[10:11]
	v_mov_b32_e32 v10, s3
	global_store_dwordx2 v[6:7], v[2:3], off
	global_load_dwordx2 v[2:3], v[8:9], off offset:3584
	s_waitcnt vmcnt(0)
	v_mul_f32_e32 v8, v5, v3
	v_mul_f32_e32 v3, v4, v3
	v_fmac_f32_e32 v8, v4, v2
	v_fma_f32 v4, v2, v5, -v3
	v_cvt_f64_f32_e32 v[2:3], v8
	v_cvt_f64_f32_e32 v[4:5], v4
	v_add_co_u32_e32 v8, vcc, s6, v12
	v_mul_f64 v[2:3], v[2:3], s[0:1]
	v_mul_f64 v[4:5], v[4:5], s[0:1]
	v_addc_co_u32_e32 v9, vcc, 0, v13, vcc
	v_add_co_u32_e32 v6, vcc, s2, v6
	v_addc_co_u32_e32 v7, vcc, v7, v10, vcc
	v_cvt_f32_f64_e32 v2, v[2:3]
	v_cvt_f32_f64_e32 v3, v[4:5]
	s_movk_i32 s6, 0x3000
	global_store_dwordx2 v[6:7], v[2:3], off
	global_load_dwordx2 v[10:11], v[8:9], off offset:448
	v_add_u32_e32 v2, 0x2000, v124
	ds_read2_b64 v[2:5], v2 offset0:56 offset1:176
	v_add_co_u32_e32 v6, vcc, s2, v6
	s_waitcnt vmcnt(0) lgkmcnt(0)
	v_mul_f32_e32 v14, v3, v11
	v_mul_f32_e32 v11, v2, v11
	v_fmac_f32_e32 v14, v2, v10
	v_fma_f32 v10, v10, v3, -v11
	v_cvt_f64_f32_e32 v[2:3], v14
	v_cvt_f64_f32_e32 v[10:11], v10
	v_mov_b32_e32 v14, s3
	v_addc_co_u32_e32 v7, vcc, v7, v14, vcc
	v_mul_f64 v[2:3], v[2:3], s[0:1]
	v_mul_f64 v[10:11], v[10:11], s[0:1]
	v_cvt_f32_f64_e32 v2, v[2:3]
	v_cvt_f32_f64_e32 v3, v[10:11]
	global_store_dwordx2 v[6:7], v[2:3], off
	global_load_dwordx2 v[2:3], v[8:9], off offset:1408
	v_add_co_u32_e32 v6, vcc, s2, v6
	s_waitcnt vmcnt(0)
	v_mul_f32_e32 v10, v5, v3
	v_mul_f32_e32 v3, v4, v3
	v_fmac_f32_e32 v10, v4, v2
	v_fma_f32 v4, v2, v5, -v3
	v_cvt_f64_f32_e32 v[2:3], v10
	v_cvt_f64_f32_e32 v[4:5], v4
	v_mov_b32_e32 v10, s3
	v_addc_co_u32_e32 v7, vcc, v7, v10, vcc
	v_mul_f64 v[2:3], v[2:3], s[0:1]
	v_mul_f64 v[4:5], v[4:5], s[0:1]
	v_cvt_f32_f64_e32 v2, v[2:3]
	v_cvt_f32_f64_e32 v3, v[4:5]
	global_store_dwordx2 v[6:7], v[2:3], off
	global_load_dwordx2 v[10:11], v[8:9], off offset:2368
	v_add_u32_e32 v2, 0x2800, v124
	ds_read2_b64 v[2:5], v2 offset0:40 offset1:160
	v_add_co_u32_e32 v6, vcc, s2, v6
	s_waitcnt vmcnt(0) lgkmcnt(0)
	v_mul_f32_e32 v14, v3, v11
	v_mul_f32_e32 v11, v2, v11
	v_fmac_f32_e32 v14, v2, v10
	v_fma_f32 v10, v10, v3, -v11
	v_cvt_f64_f32_e32 v[2:3], v14
	v_cvt_f64_f32_e32 v[10:11], v10
	v_mov_b32_e32 v14, s3
	v_addc_co_u32_e32 v7, vcc, v7, v14, vcc
	v_mul_f64 v[2:3], v[2:3], s[0:1]
	v_mul_f64 v[10:11], v[10:11], s[0:1]
	v_cvt_f32_f64_e32 v2, v[2:3]
	v_cvt_f32_f64_e32 v3, v[10:11]
	v_mov_b32_e32 v10, s3
	global_store_dwordx2 v[6:7], v[2:3], off
	global_load_dwordx2 v[2:3], v[8:9], off offset:3328
	s_waitcnt vmcnt(0)
	v_mul_f32_e32 v8, v5, v3
	v_mul_f32_e32 v3, v4, v3
	v_fmac_f32_e32 v8, v4, v2
	v_fma_f32 v4, v2, v5, -v3
	v_cvt_f64_f32_e32 v[2:3], v8
	v_cvt_f64_f32_e32 v[4:5], v4
	v_add_co_u32_e32 v8, vcc, s6, v12
	v_mul_f64 v[2:3], v[2:3], s[0:1]
	v_mul_f64 v[4:5], v[4:5], s[0:1]
	v_addc_co_u32_e32 v9, vcc, 0, v13, vcc
	v_add_co_u32_e32 v6, vcc, s2, v6
	v_addc_co_u32_e32 v7, vcc, v7, v10, vcc
	v_cvt_f32_f64_e32 v2, v[2:3]
	v_cvt_f32_f64_e32 v3, v[4:5]
	global_store_dwordx2 v[6:7], v[2:3], off
	global_load_dwordx2 v[10:11], v[8:9], off offset:192
	v_add_u32_e32 v2, 0x3000, v124
	ds_read2_b64 v[2:5], v2 offset0:24 offset1:144
	v_add_co_u32_e32 v6, vcc, s2, v6
	s_waitcnt vmcnt(0) lgkmcnt(0)
	v_mul_f32_e32 v12, v3, v11
	v_mul_f32_e32 v11, v2, v11
	v_fmac_f32_e32 v12, v2, v10
	v_fma_f32 v10, v10, v3, -v11
	v_cvt_f64_f32_e32 v[2:3], v12
	v_cvt_f64_f32_e32 v[10:11], v10
	v_mov_b32_e32 v12, s3
	v_addc_co_u32_e32 v7, vcc, v7, v12, vcc
	v_mul_f64 v[2:3], v[2:3], s[0:1]
	v_mul_f64 v[10:11], v[10:11], s[0:1]
	v_cvt_f32_f64_e32 v2, v[2:3]
	v_cvt_f32_f64_e32 v3, v[10:11]
	global_store_dwordx2 v[6:7], v[2:3], off
	global_load_dwordx2 v[2:3], v[8:9], off offset:1152
	v_add_co_u32_e32 v6, vcc, s2, v6
	s_waitcnt vmcnt(0)
	v_mul_f32_e32 v10, v5, v3
	v_mul_f32_e32 v3, v4, v3
	v_fmac_f32_e32 v10, v4, v2
	v_fma_f32 v4, v2, v5, -v3
	v_cvt_f64_f32_e32 v[2:3], v10
	v_cvt_f64_f32_e32 v[4:5], v4
	v_mov_b32_e32 v10, s3
	v_addc_co_u32_e32 v7, vcc, v7, v10, vcc
	v_mul_f64 v[2:3], v[2:3], s[0:1]
	v_mul_f64 v[4:5], v[4:5], s[0:1]
	v_cvt_f32_f64_e32 v2, v[2:3]
	v_cvt_f32_f64_e32 v3, v[4:5]
	global_store_dwordx2 v[6:7], v[2:3], off
	global_load_dwordx2 v[8:9], v[8:9], off offset:2112
	v_add_u32_e32 v2, 0x3800, v124
	ds_read2_b64 v[2:5], v2 offset0:8 offset1:128
	v_add_co_u32_e32 v6, vcc, s2, v6
	v_addc_co_u32_e32 v7, vcc, v7, v12, vcc
	s_waitcnt vmcnt(0) lgkmcnt(0)
	v_mul_f32_e32 v10, v3, v9
	v_mul_f32_e32 v9, v2, v9
	v_fmac_f32_e32 v10, v2, v8
	v_fma_f32 v8, v8, v3, -v9
	v_cvt_f64_f32_e32 v[2:3], v10
	v_cvt_f64_f32_e32 v[8:9], v8
	v_or_b32_e32 v10, 0x780, v123
	v_lshlrev_b32_e32 v11, 3, v10
	v_mul_f64 v[2:3], v[2:3], s[0:1]
	v_mul_f64 v[8:9], v[8:9], s[0:1]
	v_cvt_f32_f64_e32 v2, v[2:3]
	v_cvt_f32_f64_e32 v3, v[8:9]
	global_store_dwordx2 v[6:7], v[2:3], off
	global_load_dwordx2 v[2:3], v11, s[12:13]
	v_mad_u64_u32 v[6:7], s[2:3], s4, v10, 0
	s_waitcnt vmcnt(0)
	v_mul_f32_e32 v8, v5, v3
	v_mul_f32_e32 v3, v4, v3
	v_fmac_f32_e32 v8, v4, v2
	v_fma_f32 v4, v2, v5, -v3
	v_cvt_f64_f32_e32 v[2:3], v8
	v_cvt_f64_f32_e32 v[4:5], v4
	v_mul_f64 v[2:3], v[2:3], s[0:1]
	v_mul_f64 v[4:5], v[4:5], s[0:1]
	v_mad_u64_u32 v[7:8], s[0:1], s5, v10, v[7:8]
	v_lshlrev_b64 v[6:7], 3, v[6:7]
	v_cvt_f32_f64_e32 v2, v[2:3]
	v_cvt_f32_f64_e32 v3, v[4:5]
	v_add_co_u32_e32 v0, vcc, v0, v6
	v_addc_co_u32_e32 v1, vcc, v1, v7, vcc
	global_store_dwordx2 v[0:1], v[2:3], off
.LBB0_23:
	s_endpgm
	.section	.rodata,"a",@progbits
	.p2align	6, 0x0
	.amdhsa_kernel bluestein_single_back_len2040_dim1_sp_op_CI_CI
		.amdhsa_group_segment_fixed_size 16320
		.amdhsa_private_segment_fixed_size 112
		.amdhsa_kernarg_size 104
		.amdhsa_user_sgpr_count 6
		.amdhsa_user_sgpr_private_segment_buffer 1
		.amdhsa_user_sgpr_dispatch_ptr 0
		.amdhsa_user_sgpr_queue_ptr 0
		.amdhsa_user_sgpr_kernarg_segment_ptr 1
		.amdhsa_user_sgpr_dispatch_id 0
		.amdhsa_user_sgpr_flat_scratch_init 0
		.amdhsa_user_sgpr_private_segment_size 0
		.amdhsa_uses_dynamic_stack 0
		.amdhsa_system_sgpr_private_segment_wavefront_offset 1
		.amdhsa_system_sgpr_workgroup_id_x 1
		.amdhsa_system_sgpr_workgroup_id_y 0
		.amdhsa_system_sgpr_workgroup_id_z 0
		.amdhsa_system_sgpr_workgroup_info 0
		.amdhsa_system_vgpr_workitem_id 0
		.amdhsa_next_free_vgpr 256
		.amdhsa_next_free_sgpr 24
		.amdhsa_reserve_vcc 1
		.amdhsa_reserve_flat_scratch 0
		.amdhsa_float_round_mode_32 0
		.amdhsa_float_round_mode_16_64 0
		.amdhsa_float_denorm_mode_32 3
		.amdhsa_float_denorm_mode_16_64 3
		.amdhsa_dx10_clamp 1
		.amdhsa_ieee_mode 1
		.amdhsa_fp16_overflow 0
		.amdhsa_exception_fp_ieee_invalid_op 0
		.amdhsa_exception_fp_denorm_src 0
		.amdhsa_exception_fp_ieee_div_zero 0
		.amdhsa_exception_fp_ieee_overflow 0
		.amdhsa_exception_fp_ieee_underflow 0
		.amdhsa_exception_fp_ieee_inexact 0
		.amdhsa_exception_int_div_zero 0
	.end_amdhsa_kernel
	.text
.Lfunc_end0:
	.size	bluestein_single_back_len2040_dim1_sp_op_CI_CI, .Lfunc_end0-bluestein_single_back_len2040_dim1_sp_op_CI_CI
                                        ; -- End function
	.section	.AMDGPU.csdata,"",@progbits
; Kernel info:
; codeLenInByte = 23220
; NumSgprs: 28
; NumVgprs: 256
; ScratchSize: 112
; MemoryBound: 0
; FloatMode: 240
; IeeeMode: 1
; LDSByteSize: 16320 bytes/workgroup (compile time only)
; SGPRBlocks: 3
; VGPRBlocks: 63
; NumSGPRsForWavesPerEU: 28
; NumVGPRsForWavesPerEU: 256
; Occupancy: 1
; WaveLimiterHint : 1
; COMPUTE_PGM_RSRC2:SCRATCH_EN: 1
; COMPUTE_PGM_RSRC2:USER_SGPR: 6
; COMPUTE_PGM_RSRC2:TRAP_HANDLER: 0
; COMPUTE_PGM_RSRC2:TGID_X_EN: 1
; COMPUTE_PGM_RSRC2:TGID_Y_EN: 0
; COMPUTE_PGM_RSRC2:TGID_Z_EN: 0
; COMPUTE_PGM_RSRC2:TIDIG_COMP_CNT: 0
	.type	__hip_cuid_c56169eb01588309,@object ; @__hip_cuid_c56169eb01588309
	.section	.bss,"aw",@nobits
	.globl	__hip_cuid_c56169eb01588309
__hip_cuid_c56169eb01588309:
	.byte	0                               ; 0x0
	.size	__hip_cuid_c56169eb01588309, 1

	.ident	"AMD clang version 19.0.0git (https://github.com/RadeonOpenCompute/llvm-project roc-6.4.0 25133 c7fe45cf4b819c5991fe208aaa96edf142730f1d)"
	.section	".note.GNU-stack","",@progbits
	.addrsig
	.addrsig_sym __hip_cuid_c56169eb01588309
	.amdgpu_metadata
---
amdhsa.kernels:
  - .args:
      - .actual_access:  read_only
        .address_space:  global
        .offset:         0
        .size:           8
        .value_kind:     global_buffer
      - .actual_access:  read_only
        .address_space:  global
        .offset:         8
        .size:           8
        .value_kind:     global_buffer
      - .actual_access:  read_only
        .address_space:  global
        .offset:         16
        .size:           8
        .value_kind:     global_buffer
      - .actual_access:  read_only
        .address_space:  global
        .offset:         24
        .size:           8
        .value_kind:     global_buffer
      - .actual_access:  read_only
        .address_space:  global
        .offset:         32
        .size:           8
        .value_kind:     global_buffer
      - .offset:         40
        .size:           8
        .value_kind:     by_value
      - .address_space:  global
        .offset:         48
        .size:           8
        .value_kind:     global_buffer
      - .address_space:  global
        .offset:         56
        .size:           8
        .value_kind:     global_buffer
      - .address_space:  global
        .offset:         64
        .size:           8
        .value_kind:     global_buffer
      - .address_space:  global
        .offset:         72
        .size:           8
        .value_kind:     global_buffer
      - .offset:         80
        .size:           4
        .value_kind:     by_value
      - .address_space:  global
        .offset:         88
        .size:           8
        .value_kind:     global_buffer
      - .address_space:  global
        .offset:         96
        .size:           8
        .value_kind:     global_buffer
    .group_segment_fixed_size: 16320
    .kernarg_segment_align: 8
    .kernarg_segment_size: 104
    .language:       OpenCL C
    .language_version:
      - 2
      - 0
    .max_flat_workgroup_size: 170
    .name:           bluestein_single_back_len2040_dim1_sp_op_CI_CI
    .private_segment_fixed_size: 112
    .sgpr_count:     28
    .sgpr_spill_count: 0
    .symbol:         bluestein_single_back_len2040_dim1_sp_op_CI_CI.kd
    .uniform_work_group_size: 1
    .uses_dynamic_stack: false
    .vgpr_count:     256
    .vgpr_spill_count: 27
    .wavefront_size: 64
amdhsa.target:   amdgcn-amd-amdhsa--gfx906
amdhsa.version:
  - 1
  - 2
...

	.end_amdgpu_metadata
